;; amdgpu-corpus repo=ROCm/aiter kind=harvested arch=n/a opt=n/a

/root/src/amdgpu-assembly/repos/ROCm__aiter/hsa/gfx942/fmoe/gelu/fmoe_bf16_pertokenInt8_g1u0_gelu_1tg_ps_32x256.co:	file format elf64-amdgpu

Disassembly of section .text:

0000000000002e00 <_ZN5aiter46fmoe_bf16_pertokenInt8_g1u0_gelu_1tg_ps_32x256E>:
	v_lshrrev_b32_e32 v1, 10, v0                               // 000000002E00: 2002008A
	v_lshrrev_b32_e32 v2, 10, v1                               // 000000002E04: 2004028A
	v_and_b32_e32 v2, 0x3ff, v2                                // 000000002E08: 260404FF 000003FF
	v_and_b32_e32 v1, 0x3ff, v1                                // 000000002E10: 260202FF 000003FF
	v_and_b32_e32 v0, 0x3ff, v0                                // 000000002E18: 260000FF 000003FF
	v_lshrrev_b32_e32 v3, 6, v0                                // 000000002E20: 20060086
	v_and_b32_e32 v0, 63, v0                                   // 000000002E24: 260000BF
	s_mov_b32 s2, s2                                           // 000000002E28: BE820002
	s_mov_b32 s3, s3                                           // 000000002E2C: BE830003
	s_mov_b32 s4, s4                                           // 000000002E30: BE840004
	s_mov_b32 s99, s2                                          // 000000002E34: BEE30002
	v_readfirstlane_b32 s7, v3                                 // 000000002E38: 7E0E0503
	s_and_b32 s1, s1, 0xffff                                   // 000000002E3C: 8601FF01 0000FFFF
	s_mov_b32 s96, 0                                           // 000000002E44: BEE00080
	s_mov_b32 s97, 0                                           // 000000002E48: BEE10080
	s_mov_b32 s100, 0                                          // 000000002E4C: BEE40080
	s_load_dword s96, s[0:1], 0x1a0                            // 000000002E50: C0021800 000001A0
	s_load_dword s97, s[0:1], 0x1b0                            // 000000002E58: C0021840 000001B0
	s_waitcnt lgkmcnt(0)                                       // 000000002E60: BF8CC07F
	s_cmp_eq_u32 s96, 0                                        // 000000002E64: BF068060
	s_cbranch_scc1 label_005C                                  // 000000002E68: BF850041
	v_cvt_f32_u32_e32 v44, s97                                 // 000000002E6C: 7E580C61
	s_sub_i32 s60, 0, s97                                      // 000000002E70: 81BC6180
	v_rcp_iflag_f32_e32 v44, v44                               // 000000002E74: 7E58472C
	s_nop 0                                                    // 000000002E78: BF800000
	v_mul_f32_e32 v44, 0x4f7ffffe, v44                         // 000000002E7C: 0A5858FF 4F7FFFFE
	v_cvt_u32_f32_e32 v44, v44                                 // 000000002E84: 7E580F2C
	v_mul_lo_u32 v45, s60, v44                                 // 000000002E88: D285002D 0002583C
	v_mul_hi_u32 v45, v44, v45                                 // 000000002E90: D286002D 00025B2C
	v_add_u32_e32 v44, v44, v45                                // 000000002E98: 68585B2C
	v_mul_hi_u32 v44, s96, v44                                 // 000000002E9C: D286002C 00025860
	v_mul_lo_u32 v45, v44, s97                                 // 000000002EA4: D285002D 0000C32C
	v_sub_u32_e32 v47, s96, v45                                // 000000002EAC: 6A5E5A60
	v_add_u32_e32 v46, 1, v44                                  // 000000002EB0: 685C5881
	v_cmp_le_u32_e32 vcc, s97, v47                             // 000000002EB4: 7D965E61
	v_subrev_u32_e32 v45, s97, v47                             // 000000002EB8: 6C5A5E61
	s_nop 0                                                    // 000000002EBC: BF800000
	v_cndmask_b32_e32 v44, v44, v46, vcc                       // 000000002EC0: 00585D2C
	v_cndmask_b32_e32 v47, v47, v45, vcc                       // 000000002EC4: 005E5B2F
	v_add_u32_e32 v45, 1, v44                                  // 000000002EC8: 685A5881
	v_cmp_le_u32_e32 vcc, s97, v47                             // 000000002ECC: 7D965E61
	s_nop 1                                                    // 000000002ED0: BF800001
	v_cndmask_b32_e32 v47, v44, v45, vcc                       // 000000002ED4: 005E5B2C
	s_nop 3                                                    // 000000002ED8: BF800003
	v_readfirstlane_b32 s98, v47                               // 000000002EDC: 7EC4052F
	s_nop 3                                                    // 000000002EE0: BF800003

0000000000002ee4 <label_0039>:
	s_mov_b32 s4, 0                                            // 000000002EE4: BE840080
	v_cvt_f32_u32_e32 v44, s97                                 // 000000002EE8: 7E580C61
	s_sub_i32 s60, 0, s97                                      // 000000002EEC: 81BC6180
	v_rcp_iflag_f32_e32 v44, v44                               // 000000002EF0: 7E58472C
	s_nop 0                                                    // 000000002EF4: BF800000
	v_mul_f32_e32 v44, 0x4f7ffffe, v44                         // 000000002EF8: 0A5858FF 4F7FFFFE
	v_cvt_u32_f32_e32 v44, v44                                 // 000000002F00: 7E580F2C
	v_mul_lo_u32 v45, s60, v44                                 // 000000002F04: D285002D 0002583C
	v_mul_hi_u32 v45, v44, v45                                 // 000000002F0C: D286002D 00025B2C
	v_add_u32_e32 v44, v44, v45                                // 000000002F14: 68585B2C
	v_mul_hi_u32 v44, s99, v44                                 // 000000002F18: D286002C 00025863
	v_mul_lo_u32 v45, v44, s97                                 // 000000002F20: D285002D 0000C32C
	v_sub_u32_e32 v47, s99, v45                                // 000000002F28: 6A5E5A63
	v_add_u32_e32 v46, 1, v44                                  // 000000002F2C: 685C5881
	v_cmp_le_u32_e32 vcc, s97, v47                             // 000000002F30: 7D965E61
	v_subrev_u32_e32 v45, s97, v47                             // 000000002F34: 6C5A5E61
	s_nop 0                                                    // 000000002F38: BF800000
	v_cndmask_b32_e32 v44, v44, v46, vcc                       // 000000002F3C: 00585D2C
	v_cndmask_b32_e32 v47, v47, v45, vcc                       // 000000002F40: 005E5B2F
	v_add_u32_e32 v45, 1, v44                                  // 000000002F44: 685A5881
	v_cmp_le_u32_e32 vcc, s97, v47                             // 000000002F48: 7D965E61
	s_nop 1                                                    // 000000002F4C: BF800001
	v_cndmask_b32_e32 v47, v44, v45, vcc                       // 000000002F50: 005E5B2C
	s_nop 3                                                    // 000000002F54: BF800003
	v_readfirstlane_b32 s3, v47                                // 000000002F58: 7E06052F
	s_nop 3                                                    // 000000002F5C: BF800003
	s_mul_i32 s60, s3, s97                                     // 000000002F60: 923C6103
	s_sub_u32 s2, s99, s60                                     // 000000002F64: 80823C63
	s_mul_i32 s60, s98, s100                                   // 000000002F68: 923C6462
	s_add_i32 s3, s3, s60                                      // 000000002F6C: 81033C03

0000000000002f70 <label_005C>:
	s_and_b32 s1, s1, 0xffff                                   // 000000002F70: 8601FF01 0000FFFF
	s_load_dwordx2 s[8:9], s[0:1], 0x0                         // 000000002F78: C0060200 00000000
	s_load_dwordx2 s[20:21], s[0:1], 0x10                      // 000000002F80: C0060500 00000010
	s_load_dwordx2 s[24:25], s[0:1], 0x20                      // 000000002F88: C0060600 00000020
	s_load_dwordx2 s[50:51], s[0:1], 0x30                      // 000000002F90: C0060C80 00000030
	s_load_dwordx2 s[12:13], s[0:1], 0x40                      // 000000002F98: C0060300 00000040
	s_load_dwordx2 s[28:29], s[0:1], 0x50                      // 000000002FA0: C0060700 00000050
	s_load_dwordx2 s[32:33], s[0:1], 0x60                      // 000000002FA8: C0060800 00000060
	s_load_dwordx2 s[16:17], s[0:1], 0x70                      // 000000002FB0: C0060400 00000070
	s_load_dwordx2 s[36:37], s[0:1], 0x80                      // 000000002FB8: C0060900 00000080
	s_load_dwordx2 s[44:45], s[0:1], 0x90                      // 000000002FC0: C0060B00 00000090
	s_load_dwordx2 s[40:41], s[0:1], 0xa0                      // 000000002FC8: C0060A00 000000A0
	s_load_dwordx2 s[46:47], s[0:1], 0xb0                      // 000000002FD0: C0060B80 000000B0
	s_load_dword s64, s[0:1], 0xc0                             // 000000002FD8: C0021000 000000C0
	s_load_dword s65, s[0:1], 0xd0                             // 000000002FE0: C0021040 000000D0
	s_load_dword s67, s[0:1], 0xf0                             // 000000002FE8: C00210C0 000000F0
	s_load_dword s68, s[0:1], 0x100                            // 000000002FF0: C0021100 00000100
	s_load_dword s69, s[0:1], 0x110                            // 000000002FF8: C0021140 00000110
	s_load_dword s70, s[0:1], 0x120                            // 000000003000: C0021180 00000120
	s_load_dword s71, s[0:1], 0x130                            // 000000003008: C00211C0 00000130
	s_load_dword s72, s[0:1], 0x140                            // 000000003010: C0021200 00000140
	s_load_dword s73, s[0:1], 0x150                            // 000000003018: C0021240 00000150
	s_load_dword s74, s[0:1], 0x160                            // 000000003020: C0021280 00000160
	s_load_dword s75, s[0:1], 0x170                            // 000000003028: C00212C0 00000170
	s_load_dword s76, s[0:1], 0x180                            // 000000003030: C0021300 00000180
	s_load_dword s63, s[0:1], 0x190                            // 000000003038: C0020FC0 00000190
	s_mov_b32 s2, s2                                           // 000000003040: BE820002
	s_mov_b32 s3, s3                                           // 000000003044: BE830003
	s_mov_b32 s4, s4                                           // 000000003048: BE840004
	s_waitcnt lgkmcnt(0)                                       // 00000000304C: BF8CC07F
	s_and_b32 s51, s51, 0xffff                                 // 000000003050: 8633FF33 0000FFFF
	s_load_dword s66, s[50:51], 0x4                            // 000000003058: C0021099 00000004
	s_load_dword s50, s[50:51], 0x0                            // 000000003060: C0020C99 00000000
	s_waitcnt lgkmcnt(0)                                       // 000000003068: BF8CC07F
	s_and_b32 s45, s45, 0xffff                                 // 00000000306C: 862DFF2D 0000FFFF
	s_and_b32 s47, s47, 0xffff                                 // 000000003074: 862FFF2F 0000FFFF
	s_and_b32 s9, s9, 0xffff                                   // 00000000307C: 8609FF09 0000FFFF
	s_mul_i32 s60, s66, s68                                    // 000000003084: 923C4442
	s_mul_i32 s60, s63, s60                                    // 000000003088: 923C3C3F
	s_mul_i32 s61, s66, 4                                      // 00000000308C: 923D8442
	s_mul_i32 s61, s63, s61                                    // 000000003090: 923D3D3F
	s_mov_b32 s22, s60                                         // 000000003094: BE96003C
	s_mov_b32 s26, -16                                         // 000000003098: BE9A00D0
	s_mov_b32 s14, -16                                         // 00000000309C: BE8E00D0
	s_mov_b32 s42, -16                                         // 0000000030A0: BEAA00D0
	s_mov_b32 s30, s61                                         // 0000000030A4: BE9E003D
	s_mov_b32 s34, 0x400                                       // 0000000030A8: BEA200FF 00000400
	s_mov_b32 s38, 0x400                                       // 0000000030B0: BEA600FF 00000400
	s_mov_b32 s18, -16                                         // 0000000030B8: BE9200D0
	s_mov_b32 s23, 0x20000                                     // 0000000030BC: BE9700FF 00020000
	s_mov_b32 s27, 0x20000                                     // 0000000030C4: BE9B00FF 00020000
	s_mov_b32 s15, 0x20000                                     // 0000000030CC: BE8F00FF 00020000
	s_mov_b32 s43, 0x20000                                     // 0000000030D4: BEAB00FF 00020000
	s_mov_b32 s31, 0x20000                                     // 0000000030DC: BE9F00FF 00020000
	s_mov_b32 s35, 0x20000                                     // 0000000030E4: BEA300FF 00020000
	s_mov_b32 s39, 0x20000                                     // 0000000030EC: BEA700FF 00020000
	s_mov_b32 s19, 0x20000                                     // 0000000030F4: BE9300FF 00020000
	s_and_b32 s21, s21, 0xffff                                 // 0000000030FC: 8615FF15 0000FFFF
	s_and_b32 s25, s25, 0xffff                                 // 000000003104: 8619FF19 0000FFFF
	s_and_b32 s13, s13, 0xffff                                 // 00000000310C: 860DFF0D 0000FFFF
	s_and_b32 s41, s41, 0xffff                                 // 000000003114: 8629FF29 0000FFFF
	s_and_b32 s29, s29, 0xffff                                 // 00000000311C: 861DFF1D 0000FFFF
	s_and_b32 s33, s33, 0xffff                                 // 000000003124: 8621FF21 0000FFFF
	s_and_b32 s37, s37, 0xffff                                 // 00000000312C: 8625FF25 0000FFFF
	s_and_b32 s17, s17, 0xffff                                 // 000000003134: 8611FF11 0000FFFF
	s_or_b32 s21, s21, 0x40000                                 // 00000000313C: 8715FF15 00040000
	s_or_b32 s25, s25, 0x40000                                 // 000000003144: 8719FF19 00040000
	s_or_b32 s13, s13, 0x40000                                 // 00000000314C: 870DFF0D 00040000
	s_or_b32 s41, s41, 0x40000                                 // 000000003154: 8729FF29 00040000
	s_or_b32 s29, s29, 0x40000                                 // 00000000315C: 871DFF1D 00040000
	s_or_b32 s33, s33, 0x40000                                 // 000000003164: 8721FF21 00040000
	s_or_b32 s37, s37, 0x40000                                 // 00000000316C: 8725FF25 00040000
	s_or_b32 s17, s17, 0x40000                                 // 000000003174: 8711FF11 00040000
	v_accvgpr_write_b32 a127, 0                                // 00000000317C: D3D9407F 18000080
	v_mov_b32_e32 v223, 0                                      // 000000003184: 7FBE0280
	s_waitcnt lgkmcnt(0)                                       // 000000003188: BF8CC07F
	s_mul_i32 s60, s3, 32                                      // 00000000318C: 923CA003
	s_cmp_lt_i32 s60, s50                                      // 000000003190: BF04323C
	s_cbranch_scc0 label_1823                                  // 000000003194: BF84173D
	s_mov_b32 s80, 0                                           // 000000003198: BED00080
	s_mov_b32 s81, s64                                         // 00000000319C: BED10040
	s_mul_i32 s60, s3, 4                                       // 0000000031A0: 923C8403
	s_add_u32 s46, s60, s46                                    // 0000000031A4: 802E2E3C
	s_addc_u32 s47, 0, s47                                     // 0000000031A8: 822F2F80
	s_load_dword s5, s[46:47], 0x0                             // 0000000031AC: C0020157 00000000
	s_mul_i32 s60, s3, 32                                      // 0000000031B4: 923CA003
	s_mul_i32 s60, 4, s60                                      // 0000000031B8: 923C3C84
	v_and_b32_e32 v44, 15, v0                                  // 0000000031BC: 2658008F
	v_lshlrev_b32_e32 v44, 2, v44                              // 0000000031C0: 24585882
	v_add_u32_e32 v44, s60, v44                                // 0000000031C4: 6858583C
	v_mov_b32_e32 v45, 0                                       // 0000000031C8: 7E5A0280
	global_load_dword v6, v44, s[44:45]                        // 0000000031CC: DC508000 062C002C
	v_add_u32_e32 v44, 64, v44                                 // 0000000031D4: 685858C0
	global_load_dword v7, v44, s[44:45]                        // 0000000031D8: DC508000 072C002C
	s_mul_i32 s60, s3, 32                                      // 0000000031E0: 923CA003
	s_add_u32 s60, s7, s60                                     // 0000000031E4: 803C3C07
	s_mul_i32 s60, 4, s60                                      // 0000000031E8: 923C3C84
	s_add_u32 s44, s60, s44                                    // 0000000031EC: 802C2C3C
	s_addc_u32 s45, 0, s45                                     // 0000000031F0: 822D2D80
	s_load_dword s82, s[44:45], 0x0                            // 0000000031F4: C0021496 00000000
	s_load_dword s83, s[44:45], 0x10                           // 0000000031FC: C00214D6 00000010
	s_load_dword s84, s[44:45], 0x20                           // 000000003204: C0021516 00000020
	s_load_dword s85, s[44:45], 0x30                           // 00000000320C: C0021556 00000030
	s_load_dword s86, s[44:45], 0x40                           // 000000003214: C0021596 00000040
	s_load_dword s87, s[44:45], 0x50                           // 00000000321C: C00215D6 00000050
	s_load_dword s88, s[44:45], 0x60                           // 000000003224: C0021616 00000060
	s_load_dword s89, s[44:45], 0x70                           // 00000000322C: C0021656 00000070
	s_waitcnt lgkmcnt(0)                                       // 000000003234: BF8CC07F
	v_lshlrev_b32_e32 v44, 2, v0                               // 000000003238: 24580082
	s_lshr_b32 s61, s82, 24                                    // 00000000323C: 8F3D9852
	s_mul_i32 s61, s61, s68                                    // 000000003240: 923D443D
	s_mul_i32 s61, s61, s66                                    // 000000003244: 923D423D
	s_and_b32 s82, s82, 0xffffff                               // 000000003248: 8652FF52 00FFFFFF
	s_mul_i32 s60, s82, s68                                    // 000000003250: 923C4452
	s_add_u32 s60, s61, s60                                    // 000000003254: 803C3C3D
	v_add_u32_e64 v24, v44, s60                                // 000000003258: D1340018 0000792C
	s_lshr_b32 s61, s83, 24                                    // 000000003260: 8F3D9853
	s_mul_i32 s61, s61, s68                                    // 000000003264: 923D443D
	s_mul_i32 s61, s61, s66                                    // 000000003268: 923D423D
	s_and_b32 s83, s83, 0xffffff                               // 00000000326C: 8653FF53 00FFFFFF
	s_mul_i32 s60, s83, s68                                    // 000000003274: 923C4453
	s_add_u32 s60, s61, s60                                    // 000000003278: 803C3C3D
	v_add_u32_e64 v25, v44, s60                                // 00000000327C: D1340019 0000792C
	s_lshr_b32 s61, s84, 24                                    // 000000003284: 8F3D9854
	s_mul_i32 s61, s61, s68                                    // 000000003288: 923D443D
	s_mul_i32 s61, s61, s66                                    // 00000000328C: 923D423D
	s_and_b32 s84, s84, 0xffffff                               // 000000003290: 8654FF54 00FFFFFF
	s_mul_i32 s60, s84, s68                                    // 000000003298: 923C4454
	s_add_u32 s60, s61, s60                                    // 00000000329C: 803C3C3D
	v_add_u32_e64 v26, v44, s60                                // 0000000032A0: D134001A 0000792C
	s_lshr_b32 s61, s85, 24                                    // 0000000032A8: 8F3D9855
	s_mul_i32 s61, s61, s68                                    // 0000000032AC: 923D443D
	s_mul_i32 s61, s61, s66                                    // 0000000032B0: 923D423D
	s_and_b32 s85, s85, 0xffffff                               // 0000000032B4: 8655FF55 00FFFFFF
	s_mul_i32 s60, s85, s68                                    // 0000000032BC: 923C4455
	s_add_u32 s60, s61, s60                                    // 0000000032C0: 803C3C3D
	v_add_u32_e64 v27, v44, s60                                // 0000000032C4: D134001B 0000792C
	s_lshr_b32 s61, s86, 24                                    // 0000000032CC: 8F3D9856
	s_mul_i32 s61, s61, s68                                    // 0000000032D0: 923D443D
	s_mul_i32 s61, s61, s66                                    // 0000000032D4: 923D423D
	s_and_b32 s86, s86, 0xffffff                               // 0000000032D8: 8656FF56 00FFFFFF
	s_mul_i32 s60, s86, s68                                    // 0000000032E0: 923C4456
	s_add_u32 s60, s61, s60                                    // 0000000032E4: 803C3C3D
	v_add_u32_e64 v28, v44, s60                                // 0000000032E8: D134001C 0000792C
	s_lshr_b32 s61, s87, 24                                    // 0000000032F0: 8F3D9857
	s_mul_i32 s61, s61, s68                                    // 0000000032F4: 923D443D
	s_mul_i32 s61, s61, s66                                    // 0000000032F8: 923D423D
	s_and_b32 s87, s87, 0xffffff                               // 0000000032FC: 8657FF57 00FFFFFF
	s_mul_i32 s60, s87, s68                                    // 000000003304: 923C4457
	s_add_u32 s60, s61, s60                                    // 000000003308: 803C3C3D
	v_add_u32_e64 v29, v44, s60                                // 00000000330C: D134001D 0000792C
	s_lshr_b32 s61, s88, 24                                    // 000000003314: 8F3D9858
	s_mul_i32 s61, s61, s68                                    // 000000003318: 923D443D
	s_mul_i32 s61, s61, s66                                    // 00000000331C: 923D423D
	s_and_b32 s88, s88, 0xffffff                               // 000000003320: 8658FF58 00FFFFFF
	s_mul_i32 s60, s88, s68                                    // 000000003328: 923C4458
	s_add_u32 s60, s61, s60                                    // 00000000332C: 803C3C3D
	v_add_u32_e64 v30, v44, s60                                // 000000003330: D134001E 0000792C
	s_lshr_b32 s61, s89, 24                                    // 000000003338: 8F3D9859
	s_mul_i32 s61, s61, s68                                    // 00000000333C: 923D443D
	s_mul_i32 s61, s61, s66                                    // 000000003340: 923D423D
	s_and_b32 s89, s89, 0xffffff                               // 000000003344: 8659FF59 00FFFFFF
	s_mul_i32 s60, s89, s68                                    // 00000000334C: 923C4459
	s_add_u32 s60, s61, s60                                    // 000000003350: 803C3C3D
	v_add_u32_e64 v31, v44, s60                                // 000000003354: D134001F 0000792C
	v_lshlrev_b32_e32 v44, 2, v0                               // 00000000335C: 24580082
	s_mul_i32 s60, s82, s71                                    // 000000003360: 923C4752
	v_add_u32_e64 v80, v44, s60                                // 000000003364: D1340050 0000792C
	v_mov_b32_e32 v81, 0                                       // 00000000336C: 7EA20280
	s_mul_i32 s60, s83, s71                                    // 000000003370: 923C4753
	v_add_u32_e64 v82, v44, s60                                // 000000003374: D1340052 0000792C
	v_mov_b32_e32 v83, 0                                       // 00000000337C: 7EA60280
	s_mul_i32 s60, s84, s71                                    // 000000003380: 923C4754
	v_add_u32_e64 v84, v44, s60                                // 000000003384: D1340054 0000792C
	v_mov_b32_e32 v85, 0                                       // 00000000338C: 7EAA0280
	s_mul_i32 s60, s85, s71                                    // 000000003390: 923C4755
	v_add_u32_e64 v86, v44, s60                                // 000000003394: D1340056 0000792C
	v_mov_b32_e32 v87, 0                                       // 00000000339C: 7EAE0280
	s_mul_i32 s60, s86, s71                                    // 0000000033A0: 923C4756
	v_add_u32_e64 v88, v44, s60                                // 0000000033A4: D1340058 0000792C
	v_mov_b32_e32 v89, 0                                       // 0000000033AC: 7EB20280
	s_mul_i32 s60, s87, s71                                    // 0000000033B0: 923C4757
	v_add_u32_e64 v90, v44, s60                                // 0000000033B4: D134005A 0000792C
	v_mov_b32_e32 v91, 0                                       // 0000000033BC: 7EB60280
	s_mul_i32 s60, s88, s71                                    // 0000000033C0: 923C4758
	v_add_u32_e64 v92, v44, s60                                // 0000000033C4: D134005C 0000792C
	v_mov_b32_e32 v93, 0                                       // 0000000033CC: 7EBA0280
	s_mul_i32 s60, s89, s71                                    // 0000000033D0: 923C4759
	v_add_u32_e64 v94, v44, s60                                // 0000000033D4: D134005E 0000792C
	v_mov_b32_e32 v95, 0                                       // 0000000033DC: 7EBE0280
	s_mul_i32 s60, s7, 0x820                                   // 0000000033E0: 923CFF07 00000820
	s_add_u32 s50, 0, s60                                      // 0000000033E8: 80323C80
	s_add_u32 s51, 0x2080, s50                                 // 0000000033EC: 803332FF 00002080
	v_lshrrev_b32_e32 v44, 4, v0                               // 0000000033F4: 20580084
	v_lshlrev_b32_e32 v45, 2, v44                              // 0000000033F8: 245A5882
	v_and_b32_e32 v44, 15, v0                                  // 0000000033FC: 2658008F
	v_lshrrev_b32_e32 v46, 2, v44                              // 000000003400: 205C5882
	v_lshlrev_b32_e32 v46, 6, v46                              // 000000003404: 245C5C86
	v_add_u32_e32 v45, v46, v45                                // 000000003408: 685A5B2E
	v_and_b32_e32 v44, 3, v0                                   // 00000000340C: 26580083
	v_mul_i32_i24_e32 v46, 0x208, v44                          // 000000003410: 0C5C58FF 00000208
	v_add_u32_e32 v45, v46, v45                                // 000000003418: 685A5B2E
	v_lshlrev_b32_e32 v2, 2, v45                               // 00000000341C: 24045A82
	s_mul_i32 s60, s2, 0x100                                   // 000000003420: 923CFF02 00000100
	s_mul_i32 s60, s60, s69                                    // 000000003428: 923C453C
	s_mul_i32 s61, s5, s72                                     // 00000000342C: 923D4805
	s_add_u32 s60, s61, s60                                    // 000000003430: 803C3C3D
	s_add_u32 s24, s60, s24                                    // 000000003434: 8018183C
	s_addc_u32 s25, 0, s25                                     // 000000003438: 82191980
	s_mul_i32 s60, s7, 16                                      // 00000000343C: 923C9007
	s_mul_i32 s60, s60, s69                                    // 000000003440: 923C453C
	v_lshlrev_b32_e32 v32, 4, v0                               // 000000003444: 24400084
	v_add_u32_e32 v32, s60, v32                                // 000000003448: 6840403C
	s_mul_i32 s60, 64, s69                                     // 00000000344C: 923C45C0
	v_add_u32_e32 v33, s60, v32                                // 000000003450: 6842403C
	v_add_u32_e32 v34, s60, v33                                // 000000003454: 6844423C
	v_add_u32_e32 v35, s60, v34                                // 000000003458: 6846443C
	s_mul_i32 s60, s2, 0x1000                                  // 00000000345C: 923CFF02 00001000
	s_mul_i32 s61, s5, s73                                     // 000000003464: 923D4905
	s_add_u32 s60, s61, s60                                    // 000000003468: 803C3C3D
	s_add_u32 s12, s60, s12                                    // 00000000346C: 800C0C3C
	s_addc_u32 s13, 0, s13                                     // 000000003470: 820D0D80
	s_mul_i32 s60, s7, 16                                      // 000000003474: 923C9007
	s_mul_i32 s60, s60, s70                                    // 000000003478: 923C463C
	v_lshlrev_b32_e32 v36, 4, v0                               // 00000000347C: 24480084
	v_add_u32_e32 v36, s60, v36                                // 000000003480: 6848483C
	s_mul_i32 s60, 64, s70                                     // 000000003484: 923C46C0
	v_add_u32_e32 v37, s60, v36                                // 000000003488: 684A483C
	v_add_u32_e32 v38, s60, v37                                // 00000000348C: 684C4A3C
	v_add_u32_e32 v39, s60, v38                                // 000000003490: 684E4C3C
	s_mul_i32 s60, s3, 32                                      // 000000003494: 923CA003
	s_mul_i32 s60, 4, s60                                      // 000000003498: 923C3C84
	s_add_u32 s40, s60, s40                                    // 00000000349C: 8028283C
	s_addc_u32 s41, 0, s41                                     // 0000000034A0: 82292980
	v_and_b32_e32 v44, 15, v0                                  // 0000000034A4: 2658008F
	v_lshlrev_b32_e32 v8, 2, v44                               // 0000000034A8: 24105882
	v_add_u32_e32 v9, 64, v8                                   // 0000000034AC: 681210C0
	v_lshrrev_b32_e32 v44, 4, v0                               // 0000000034B0: 20580084
	v_lshlrev_b32_e32 v45, 2, v44                              // 0000000034B4: 245A5882
	v_and_b32_e32 v44, 15, v0                                  // 0000000034B8: 2658008F
	v_lshrrev_b32_e32 v46, 2, v44                              // 0000000034BC: 205C5882
	v_lshlrev_b32_e32 v46, 6, v46                              // 0000000034C0: 245C5C86
	v_add_u32_e32 v45, v46, v45                                // 0000000034C4: 685A5B2E
	v_and_b32_e32 v44, 3, v0                                   // 0000000034C8: 26580083
	v_add_u32_e32 v45, v44, v45                                // 0000000034CC: 685A5B2C
	v_lshlrev_b32_e32 v10, 2, v45                              // 0000000034D0: 24145A82
	v_add_u32_e32 v11, 0x400, v10                              // 0000000034D4: 681614FF 00000400
	s_mul_i32 s60, s7, 16                                      // 0000000034DC: 923C9007
	s_mul_i32 s60, s60, 4                                      // 0000000034E0: 923C843C
	v_add_u32_e32 v10, s60, v10                                // 0000000034E4: 6814143C
	v_add_u32_e32 v11, s60, v11                                // 0000000034E8: 6816163C
	v_mov_b32_e32 v5, v10                                      // 0000000034EC: 7E0A030A
	s_mul_i32 s60, s2, 0x100                                   // 0000000034F0: 923CFF02 00000100
	s_mul_i32 s60, s60, 4                                      // 0000000034F8: 923C843C
	s_mul_i32 s61, s5, s74                                     // 0000000034FC: 923D4A05
	s_add_u32 s61, s61, s60                                    // 000000003500: 803D3C3D
	s_mul_i32 s62, s5, s76                                     // 000000003504: 923E4C05
	s_add_u32 s62, s62, s60                                    // 000000003508: 803E3C3E
	s_add_u32 s32, s61, s32                                    // 00000000350C: 8020203D
	s_addc_u32 s33, 0, s33                                     // 000000003510: 82212180
	s_add_u32 s36, s62, s36                                    // 000000003514: 8024243E
	s_addc_u32 s37, 0, s37                                     // 000000003518: 82252580
	s_mul_i32 s60, s5, s75                                     // 00000000351C: 923C4B05
	s_add_u32 s16, s60, s16                                    // 000000003520: 8010103C
	s_addc_u32 s17, 0, s17                                     // 000000003524: 82111180
	s_mov_b32 s57, 0x100                                       // 000000003528: BEB900FF 00000100
	s_mov_b32 s58, 0x1000                                      // 000000003530: BEBA00FF 00001000
	s_mov_b32 s79, 0x400                                       // 000000003538: BECF00FF 00000400
	s_mov_b32 s59, 0x200                                       // 000000003540: BEBB00FF 00000200
	s_mul_i32 s60, s70, 0x100                                  // 000000003548: 923CFF46 00000100
	s_mov_b32 s78, 0x400                                       // 000000003550: BECE00FF 00000400
	s_mul_i32 s61, s78, 3                                      // 000000003558: 923D834E
	s_sub_u32 s56, s60, s61                                    // 00000000355C: 80B83D3C
	s_mov_b32 s52, 0x7060302                                   // 000000003560: BEB400FF 07060302
	s_mov_b32 s53, 0x400                                       // 000000003568: BEB500FF 00000400
	s_mov_b32 s54, 0x40100                                     // 000000003570: BEB600FF 00040100
	s_mov_b32 s55, 0x4020100                                   // 000000003578: BEB700FF 04020100
	s_mov_b32 s6, 0x3fb8aa3b                                   // 000000003580: BE8600FF 3FB8AA3B
	s_mov_b32 s77, 0xbd92220c                                  // 000000003588: BECD00FF BD92220C
	s_mov_b32 m0, s50                                          // 000000003590: BEFC0032
	v_mov_b32_e32 v1, 0xbfcc4231                               // 000000003594: 7E0202FF BFCC4231
	v_mov_b32_e32 v41, 0xffff0000                              // 00000000359C: 7E5202FF FFFF0000
	v_mov_b32_e32 v42, 0x7fff0000                              // 0000000035A4: 7E5402FF 7FFF0000
	v_mov_b32_e32 v43, 0x7fff                                  // 0000000035AC: 7E5602FF 00007FFF
	s_waitcnt vmcnt(0) expcnt(0) lgkmcnt(0)                    // 0000000035B4: BF8C0000
	v_lshrrev_b32_e32 v44, 24, v6                              // 0000000035B8: 20580C98
	v_mul_i32_i24_e32 v44, s66, v44                            // 0000000035BC: 0C585842
	v_and_b32_e32 v45, 0xffffff, v6                            // 0000000035C0: 265A0CFF 00FFFFFF
	v_add_u32_e32 v6, v44, v45                                 // 0000000035C8: 680C5B2C
	v_lshrrev_b32_e32 v44, 24, v7                              // 0000000035CC: 20580E98
	v_mul_i32_i24_e32 v44, s66, v44                            // 0000000035D0: 0C585842
	v_and_b32_e32 v45, 0xffffff, v7                            // 0000000035D4: 265A0EFF 00FFFFFF
	v_add_u32_e32 v7, v44, v45                                 // 0000000035DC: 680E5B2C
	v_lshlrev_b32_e32 v6, 2, v6                                // 0000000035E0: 240C0C82
	v_lshlrev_b32_e32 v7, 2, v7                                // 0000000035E4: 240E0E82
	buffer_load_dword v13, v6, s[28:31], 0 offen               // 0000000035E8: E0501000 80070D06
	buffer_load_dword v14, v7, s[28:31], 0 offen               // 0000000035F0: E0501000 80070E07
	buffer_load_dword v15, v10, s[32:35], 0 offen              // 0000000035F8: E0501000 80080F0A
	buffer_load_dword v16, v11, s[32:35], 0 offen              // 000000003600: E0501000 8008100B
	buffer_load_dword v16, v10, s[36:39], 0 offen              // 000000003608: E0501000 8009100A
	buffer_load_dword v17, v11, s[36:39], 0 offen              // 000000003610: E0501000 8009110B
	buffer_load_dword v17, v8, s[40:43], 0 offen               // 000000003618: E0501000 800A1108
	buffer_load_dword v18, v9, s[40:43], 0 offen               // 000000003620: E0501000 800A1209
	buffer_load_dword v24, s[20:23], 0 offen lds               // 000000003628: E0511000 80050018
	s_add_u32 m0, 0x100, s50                                   // 000000003630: 807C32FF 00000100
	buffer_load_dword v25, s[20:23], 0 offen lds               // 000000003638: E0511000 80050019
	s_add_u32 m0, 0x200, s50                                   // 000000003640: 807C32FF 00000200
	buffer_load_dword v26, s[20:23], 0 offen lds               // 000000003648: E0511000 8005001A
	s_add_u32 m0, 0x300, s50                                   // 000000003650: 807C32FF 00000300
	buffer_load_dword v27, s[20:23], 0 offen lds               // 000000003658: E0511000 8005001B
	s_add_u32 m0, 0x400, s50                                   // 000000003660: 807C32FF 00000400
	buffer_load_dword v28, s[20:23], 0 offen lds               // 000000003668: E0511000 8005001C
	s_add_u32 m0, 0x500, s50                                   // 000000003670: 807C32FF 00000500
	buffer_load_dword v29, s[20:23], 0 offen lds               // 000000003678: E0511000 8005001D
	s_add_u32 m0, 0x600, s50                                   // 000000003680: 807C32FF 00000600
	buffer_load_dword v30, s[20:23], 0 offen lds               // 000000003688: E0511000 8005001E
	s_add_u32 m0, 0x700, s50                                   // 000000003690: 807C32FF 00000700
	buffer_load_dword v31, s[20:23], 0 offen lds               // 000000003698: E0511000 8005001F
	s_add_u32 m0, 0, s51                                       // 0000000036A0: 807C3380
	s_add_u32 s20, s57, s20                                    // 0000000036A4: 80141439
	s_addc_u32 s21, 0, s21                                     // 0000000036A8: 82151580
	buffer_load_dword v24, s[20:23], 0 offen lds               // 0000000036AC: E0511000 80050018
	s_add_u32 m0, 0x100, s51                                   // 0000000036B4: 807C33FF 00000100
	buffer_load_dword v25, s[20:23], 0 offen lds               // 0000000036BC: E0511000 80050019
	s_add_u32 m0, 0x200, s51                                   // 0000000036C4: 807C33FF 00000200
	buffer_load_dword v26, s[20:23], 0 offen lds               // 0000000036CC: E0511000 8005001A
	s_add_u32 m0, 0x300, s51                                   // 0000000036D4: 807C33FF 00000300
	buffer_load_dword v27, s[20:23], 0 offen lds               // 0000000036DC: E0511000 8005001B
	s_add_u32 m0, 0x400, s51                                   // 0000000036E4: 807C33FF 00000400
	buffer_load_dword v28, s[20:23], 0 offen lds               // 0000000036EC: E0511000 8005001C
	s_add_u32 m0, 0x500, s51                                   // 0000000036F4: 807C33FF 00000500
	buffer_load_dword v29, s[20:23], 0 offen lds               // 0000000036FC: E0511000 8005001D
	s_add_u32 m0, 0x600, s51                                   // 000000003704: 807C33FF 00000600
	buffer_load_dword v30, s[20:23], 0 offen lds               // 00000000370C: E0511000 8005001E
	s_add_u32 m0, 0x700, s51                                   // 000000003714: 807C33FF 00000700
	buffer_load_dword v31, s[20:23], 0 offen lds               // 00000000371C: E0511000 8005001F
	s_add_u32 m0, 0, s50                                       // 000000003724: 807C3280
	s_add_u32 s20, s57, s20                                    // 000000003728: 80141439
	s_addc_u32 s21, 0, s21                                     // 00000000372C: 82151580
	buffer_load_dwordx4 a[0:3], v32, s[24:27], 0 offen         // 000000003730: E05C1000 80860020
	buffer_load_dwordx4 a[4:7], v32, s[24:27], 0 offen offset:1024// 000000003738: E05C1400 80860420
	buffer_load_dwordx4 a[8:11], v32, s[24:27], 0 offen offset:2048// 000000003740: E05C1800 80860820
	buffer_load_dwordx4 a[12:15], v32, s[24:27], 0 offen offset:3072// 000000003748: E05C1C00 80860C20
	buffer_load_dwordx4 a[16:19], v33, s[24:27], 0 offen       // 000000003750: E05C1000 80861021
	buffer_load_dwordx4 a[20:23], v33, s[24:27], 0 offen offset:1024// 000000003758: E05C1400 80861421
	buffer_load_dwordx4 a[24:27], v33, s[24:27], 0 offen offset:2048// 000000003760: E05C1800 80861821
	buffer_load_dwordx4 a[28:31], v33, s[24:27], 0 offen offset:3072// 000000003768: E05C1C00 80861C21
	buffer_load_dwordx4 a[32:35], v34, s[24:27], 0 offen       // 000000003770: E05C1000 80862022
	buffer_load_dwordx4 a[36:39], v34, s[24:27], 0 offen offset:1024// 000000003778: E05C1400 80862422
	buffer_load_dwordx4 a[40:43], v34, s[24:27], 0 offen offset:2048// 000000003780: E05C1800 80862822
	buffer_load_dwordx4 a[44:47], v34, s[24:27], 0 offen offset:3072// 000000003788: E05C1C00 80862C22
	buffer_load_dwordx4 a[48:51], v35, s[24:27], 0 offen       // 000000003790: E05C1000 80863023
	buffer_load_dwordx4 a[52:55], v35, s[24:27], 0 offen offset:1024// 000000003798: E05C1400 80863423
	buffer_load_dwordx4 a[56:59], v35, s[24:27], 0 offen offset:2048// 0000000037A0: E05C1800 80863823
	buffer_load_dwordx4 a[60:63], v35, s[24:27], 0 offen offset:3072// 0000000037A8: E05C1C00 80863C23
	s_add_u32 s24, s58, s24                                    // 0000000037B0: 8018183A
	s_addc_u32 s25, 0, s25                                     // 0000000037B4: 82191980
	v_mov_b32_e32 v128, 0                                      // 0000000037B8: 7F000280
	v_mov_b32_e32 v129, 0                                      // 0000000037BC: 7F020280
	v_mov_b32_e32 v130, 0                                      // 0000000037C0: 7F040280
	v_mov_b32_e32 v131, 0                                      // 0000000037C4: 7F060280
	v_mov_b32_e32 v132, 0                                      // 0000000037C8: 7F080280
	v_mov_b32_e32 v133, 0                                      // 0000000037CC: 7F0A0280
	v_mov_b32_e32 v134, 0                                      // 0000000037D0: 7F0C0280
	v_mov_b32_e32 v135, 0                                      // 0000000037D4: 7F0E0280
	v_mov_b32_e32 v136, 0                                      // 0000000037D8: 7F100280
	v_mov_b32_e32 v137, 0                                      // 0000000037DC: 7F120280
	v_mov_b32_e32 v138, 0                                      // 0000000037E0: 7F140280
	v_mov_b32_e32 v139, 0                                      // 0000000037E4: 7F160280
	v_mov_b32_e32 v140, 0                                      // 0000000037E8: 7F180280
	v_mov_b32_e32 v141, 0                                      // 0000000037EC: 7F1A0280
	v_mov_b32_e32 v142, 0                                      // 0000000037F0: 7F1C0280
	v_mov_b32_e32 v143, 0                                      // 0000000037F4: 7F1E0280
	v_mov_b32_e32 v144, 0                                      // 0000000037F8: 7F200280
	v_mov_b32_e32 v145, 0                                      // 0000000037FC: 7F220280
	v_mov_b32_e32 v146, 0                                      // 000000003800: 7F240280
	v_mov_b32_e32 v147, 0                                      // 000000003804: 7F260280
	v_mov_b32_e32 v148, 0                                      // 000000003808: 7F280280
	v_mov_b32_e32 v149, 0                                      // 00000000380C: 7F2A0280
	v_mov_b32_e32 v150, 0                                      // 000000003810: 7F2C0280
	v_mov_b32_e32 v151, 0                                      // 000000003814: 7F2E0280
	v_mov_b32_e32 v152, 0                                      // 000000003818: 7F300280
	v_mov_b32_e32 v153, 0                                      // 00000000381C: 7F320280
	v_mov_b32_e32 v154, 0                                      // 000000003820: 7F340280
	v_mov_b32_e32 v155, 0                                      // 000000003824: 7F360280
	v_mov_b32_e32 v156, 0                                      // 000000003828: 7F380280
	v_mov_b32_e32 v157, 0                                      // 00000000382C: 7F3A0280
	v_mov_b32_e32 v158, 0                                      // 000000003830: 7F3C0280
	v_mov_b32_e32 v159, 0                                      // 000000003834: 7F3E0280
	v_lshrrev_b32_e32 v44, 4, v0                               // 000000003838: 20580084
	v_mul_i32_i24_e32 v3, 34, v44                              // 00000000383C: 0C0658A2
	v_and_b32_e32 v44, 15, v0                                  // 000000003840: 2658008F
	v_mul_i32_i24_e32 v45, 2, v44                              // 000000003844: 0C5A5882
	v_add_u32_e32 v3, v45, v3                                  // 000000003848: 6806072D
	s_mul_i32 s60, s7, 0x88                                    // 00000000384C: 923CFF07 00000088
	v_add_u32_e32 v3, s60, v3                                  // 000000003854: 6806063C
	v_lshlrev_b32_e32 v3, 2, v3                                // 000000003858: 24060682
	v_lshrrev_b32_e32 v44, 1, v0                               // 00000000385C: 20580081
	v_mul_i32_i24_e32 v4, 34, v44                              // 000000003860: 0C0858A2
	v_and_b32_e32 v45, 1, v0                                   // 000000003864: 265A0081
	v_add_u32_e32 v4, v45, v4                                  // 000000003868: 6808092D
	s_mul_i32 s60, s7, 2                                       // 00000000386C: 923C8207
	v_add_u32_e32 v4, s60, v4                                  // 000000003870: 6808083C
	v_lshlrev_b32_e32 v4, 2, v4                                // 000000003874: 24080882
	s_waitcnt vmcnt(24)                                        // 000000003878: BF8C4F78
	s_barrier                                                  // 00000000387C: BF8A0000
	ds_read_b128 v[160:163], v2                                // 000000003880: D9FE0000 A0000002
	ds_read_b128 v[164:167], v2 offset:64                      // 000000003888: D9FE0040 A4000002
	ds_read_b128 v[168:171], v2 offset:128                     // 000000003890: D9FE0080 A8000002
	ds_read_b128 v[172:175], v2 offset:192                     // 000000003898: D9FE00C0 AC000002
	ds_read_b128 v[176:179], v2 offset:1024                    // 0000000038A0: D9FE0400 B0000002
	ds_read_b128 v[180:183], v2 offset:1088                    // 0000000038A8: D9FE0440 B4000002
	ds_read_b128 v[184:187], v2 offset:1152                    // 0000000038B0: D9FE0480 B8000002
	ds_read_b128 v[188:191], v2 offset:1216                    // 0000000038B8: D9FE04C0 BC000002
	s_cmp_lt_i32 s7, 2                                         // 0000000038C0: BF048207
	s_cbranch_scc0 label_0D6A                                  // 0000000038C4: BF840AB8

00000000000038c8 <label_02B2>:
	s_waitcnt vmcnt(8) lgkmcnt(0)                              // 0000000038C8: BF8C0078
	s_barrier                                                  // 0000000038CC: BF8A0000
	v_mfma_i32_16x16x32_i8 v[128:131], a[0:1], v[160:161], v[128:131]// 0000000038D0: D3D70080 0E034100
	v_mfma_i32_16x16x32_i8 v[128:131], a[2:3], v[162:163], v[128:131]// 0000000038D8: D3D70080 0E034502
	buffer_load_dwordx4 a[64:67], v32, s[24:27], 0 offen       // 0000000038E0: E05C1000 80864020
	v_mfma_i32_16x16x32_i8 v[128:131], a[4:5], v[164:165], v[128:131]// 0000000038E8: D3D70080 0E034904
	v_mfma_i32_16x16x32_i8 v[128:131], a[6:7], v[166:167], v[128:131]// 0000000038F0: D3D70080 0E034D06
	buffer_load_dword v24, s[20:23], 0 offen lds               // 0000000038F8: E0511000 80050018
	s_add_u32 m0, 0x100, s50                                   // 000000003900: 807C32FF 00000100
	v_mfma_i32_16x16x32_i8 v[128:131], a[8:9], v[168:169], v[128:131]// 000000003908: D3D70080 0E035108
	v_mfma_i32_16x16x32_i8 v[128:131], a[10:11], v[170:171], v[128:131]// 000000003910: D3D70080 0E03550A
	buffer_load_dwordx4 a[68:71], v32, s[24:27], 0 offen offset:1024// 000000003918: E05C1400 80864420
	v_mfma_i32_16x16x32_i8 v[128:131], a[12:13], v[172:173], v[128:131]// 000000003920: D3D70080 0E03590C
	v_mfma_i32_16x16x32_i8 v[128:131], a[14:15], v[174:175], v[128:131]// 000000003928: D3D70080 0E035D0E
	buffer_load_dword v25, s[20:23], 0 offen lds               // 000000003930: E0511000 80050019
	s_add_u32 m0, 0x200, s50                                   // 000000003938: 807C32FF 00000200
	v_mfma_i32_16x16x32_i8 v[132:135], a[0:1], v[176:177], v[132:135]// 000000003940: D3D70084 0E136100
	v_mfma_i32_16x16x32_i8 v[132:135], a[2:3], v[178:179], v[132:135]// 000000003948: D3D70084 0E136502
	buffer_load_dwordx4 a[72:75], v32, s[24:27], 0 offen offset:2048// 000000003950: E05C1800 80864820
	v_mfma_i32_16x16x32_i8 v[132:135], a[4:5], v[180:181], v[132:135]// 000000003958: D3D70084 0E136904
	v_mfma_i32_16x16x32_i8 v[132:135], a[6:7], v[182:183], v[132:135]// 000000003960: D3D70084 0E136D06
	buffer_load_dword v26, s[20:23], 0 offen lds               // 000000003968: E0511000 8005001A
	s_add_u32 m0, 0x300, s50                                   // 000000003970: 807C32FF 00000300
	v_mfma_i32_16x16x32_i8 v[132:135], a[8:9], v[184:185], v[132:135]// 000000003978: D3D70084 0E137108
	v_mfma_i32_16x16x32_i8 v[132:135], a[10:11], v[186:187], v[132:135]// 000000003980: D3D70084 0E13750A
	buffer_load_dwordx4 a[76:79], v32, s[24:27], 0 offen offset:3072// 000000003988: E05C1C00 80864C20
	v_mfma_i32_16x16x32_i8 v[132:135], a[12:13], v[188:189], v[132:135]// 000000003990: D3D70084 0E13790C
	v_mfma_i32_16x16x32_i8 v[132:135], a[14:15], v[190:191], v[132:135]// 000000003998: D3D70084 0E137D0E
	buffer_load_dword v27, s[20:23], 0 offen lds               // 0000000039A0: E0511000 8005001B
	s_add_u32 m0, 0x400, s50                                   // 0000000039A8: 807C32FF 00000400
	v_mfma_i32_16x16x32_i8 v[136:139], a[16:17], v[160:161], v[136:139]// 0000000039B0: D3D70088 0E234110
	v_mfma_i32_16x16x32_i8 v[136:139], a[18:19], v[162:163], v[136:139]// 0000000039B8: D3D70088 0E234512
	buffer_load_dwordx4 a[80:83], v33, s[24:27], 0 offen       // 0000000039C0: E05C1000 80865021
	v_mfma_i32_16x16x32_i8 v[136:139], a[20:21], v[164:165], v[136:139]// 0000000039C8: D3D70088 0E234914
	v_mfma_i32_16x16x32_i8 v[136:139], a[22:23], v[166:167], v[136:139]// 0000000039D0: D3D70088 0E234D16
	buffer_load_dword v28, s[20:23], 0 offen lds               // 0000000039D8: E0511000 8005001C
	s_add_u32 m0, 0x500, s50                                   // 0000000039E0: 807C32FF 00000500
	v_mfma_i32_16x16x32_i8 v[136:139], a[24:25], v[168:169], v[136:139]// 0000000039E8: D3D70088 0E235118
	v_mfma_i32_16x16x32_i8 v[136:139], a[26:27], v[170:171], v[136:139]// 0000000039F0: D3D70088 0E23551A
	buffer_load_dwordx4 a[84:87], v33, s[24:27], 0 offen offset:1024// 0000000039F8: E05C1400 80865421
	v_mfma_i32_16x16x32_i8 v[136:139], a[28:29], v[172:173], v[136:139]// 000000003A00: D3D70088 0E23591C
	v_mfma_i32_16x16x32_i8 v[136:139], a[30:31], v[174:175], v[136:139]// 000000003A08: D3D70088 0E235D1E
	buffer_load_dword v29, s[20:23], 0 offen lds               // 000000003A10: E0511000 8005001D
	s_add_u32 m0, 0x600, s50                                   // 000000003A18: 807C32FF 00000600
	v_mfma_i32_16x16x32_i8 v[140:143], a[16:17], v[176:177], v[140:143]// 000000003A20: D3D7008C 0E336110
	v_mfma_i32_16x16x32_i8 v[140:143], a[18:19], v[178:179], v[140:143]// 000000003A28: D3D7008C 0E336512
	buffer_load_dwordx4 a[88:91], v33, s[24:27], 0 offen offset:2048// 000000003A30: E05C1800 80865821
	v_mfma_i32_16x16x32_i8 v[140:143], a[20:21], v[180:181], v[140:143]// 000000003A38: D3D7008C 0E336914
	v_mfma_i32_16x16x32_i8 v[140:143], a[22:23], v[182:183], v[140:143]// 000000003A40: D3D7008C 0E336D16
	buffer_load_dword v30, s[20:23], 0 offen lds               // 000000003A48: E0511000 8005001E
	s_add_u32 m0, 0x700, s50                                   // 000000003A50: 807C32FF 00000700
	v_mfma_i32_16x16x32_i8 v[140:143], a[24:25], v[184:185], v[140:143]// 000000003A58: D3D7008C 0E337118
	v_mfma_i32_16x16x32_i8 v[140:143], a[26:27], v[186:187], v[140:143]// 000000003A60: D3D7008C 0E33751A
	buffer_load_dwordx4 a[92:95], v33, s[24:27], 0 offen offset:3072// 000000003A68: E05C1C00 80865C21
	v_mfma_i32_16x16x32_i8 v[140:143], a[28:29], v[188:189], v[140:143]// 000000003A70: D3D7008C 0E33791C
	v_mfma_i32_16x16x32_i8 v[140:143], a[30:31], v[190:191], v[140:143]// 000000003A78: D3D7008C 0E337D1E
	buffer_load_dword v31, s[20:23], 0 offen lds               // 000000003A80: E0511000 8005001F
	s_add_u32 m0, 0, s51                                       // 000000003A88: 807C3380
	s_waitcnt vmcnt(20)                                        // 000000003A8C: BF8C4F74
	v_mfma_i32_16x16x32_i8 v[144:147], a[32:33], v[160:161], v[144:147]// 000000003A90: D3D70090 0E434120
	v_mfma_i32_16x16x32_i8 v[144:147], a[34:35], v[162:163], v[144:147]// 000000003A98: D3D70090 0E434522
	buffer_load_dwordx4 a[96:99], v34, s[24:27], 0 offen       // 000000003AA0: E05C1000 80866022
	v_mfma_i32_16x16x32_i8 v[144:147], a[36:37], v[164:165], v[144:147]// 000000003AA8: D3D70090 0E434924
	v_mfma_i32_16x16x32_i8 v[144:147], a[38:39], v[166:167], v[144:147]// 000000003AB0: D3D70090 0E434D26
	ds_read_b128 v[192:195], v2 offset:8320                    // 000000003AB8: D9FE2080 C0000002
	v_mfma_i32_16x16x32_i8 v[144:147], a[40:41], v[168:169], v[144:147]// 000000003AC0: D3D70090 0E435128
	v_mfma_i32_16x16x32_i8 v[144:147], a[42:43], v[170:171], v[144:147]// 000000003AC8: D3D70090 0E43552A
	buffer_load_dwordx4 a[100:103], v34, s[24:27], 0 offen offset:1024// 000000003AD0: E05C1400 80866422
	v_mfma_i32_16x16x32_i8 v[144:147], a[44:45], v[172:173], v[144:147]// 000000003AD8: D3D70090 0E43592C
	v_mfma_i32_16x16x32_i8 v[144:147], a[46:47], v[174:175], v[144:147]// 000000003AE0: D3D70090 0E435D2E
	ds_read_b128 v[196:199], v2 offset:8384                    // 000000003AE8: D9FE20C0 C4000002
	v_mfma_i32_16x16x32_i8 v[148:151], a[32:33], v[176:177], v[148:151]// 000000003AF0: D3D70094 0E536120
	v_mfma_i32_16x16x32_i8 v[148:151], a[34:35], v[178:179], v[148:151]// 000000003AF8: D3D70094 0E536522
	buffer_load_dwordx4 a[104:107], v34, s[24:27], 0 offen offset:2048// 000000003B00: E05C1800 80866822
	v_mfma_i32_16x16x32_i8 v[148:151], a[36:37], v[180:181], v[148:151]// 000000003B08: D3D70094 0E536924
	v_mfma_i32_16x16x32_i8 v[148:151], a[38:39], v[182:183], v[148:151]// 000000003B10: D3D70094 0E536D26
	ds_read_b128 v[200:203], v2 offset:8448                    // 000000003B18: D9FE2100 C8000002
	v_mfma_i32_16x16x32_i8 v[148:151], a[40:41], v[184:185], v[148:151]// 000000003B20: D3D70094 0E537128
	v_mfma_i32_16x16x32_i8 v[148:151], a[42:43], v[186:187], v[148:151]// 000000003B28: D3D70094 0E53752A
	buffer_load_dwordx4 a[108:111], v34, s[24:27], 0 offen offset:3072// 000000003B30: E05C1C00 80866C22
	v_mfma_i32_16x16x32_i8 v[148:151], a[44:45], v[188:189], v[148:151]// 000000003B38: D3D70094 0E53792C
	v_mfma_i32_16x16x32_i8 v[148:151], a[46:47], v[190:191], v[148:151]// 000000003B40: D3D70094 0E537D2E
	ds_read_b128 v[204:207], v2 offset:8512                    // 000000003B48: D9FE2140 CC000002
	s_waitcnt vmcnt(20)                                        // 000000003B50: BF8C4F74
	v_mfma_i32_16x16x32_i8 v[152:155], a[48:49], v[160:161], v[152:155]// 000000003B54: D3D70098 0E634130
	v_mfma_i32_16x16x32_i8 v[152:155], a[50:51], v[162:163], v[152:155]// 000000003B5C: D3D70098 0E634532
	buffer_load_dwordx4 a[112:115], v35, s[24:27], 0 offen     // 000000003B64: E05C1000 80867023
	v_mfma_i32_16x16x32_i8 v[152:155], a[52:53], v[164:165], v[152:155]// 000000003B6C: D3D70098 0E634934
	v_mfma_i32_16x16x32_i8 v[152:155], a[54:55], v[166:167], v[152:155]// 000000003B74: D3D70098 0E634D36
	ds_read_b128 v[208:211], v2 offset:9344                    // 000000003B7C: D9FE2480 D0000002
	v_mfma_i32_16x16x32_i8 v[152:155], a[56:57], v[168:169], v[152:155]// 000000003B84: D3D70098 0E635138
	v_mfma_i32_16x16x32_i8 v[152:155], a[58:59], v[170:171], v[152:155]// 000000003B8C: D3D70098 0E63553A
	buffer_load_dwordx4 a[116:119], v35, s[24:27], 0 offen offset:1024// 000000003B94: E05C1400 80867423
	v_mfma_i32_16x16x32_i8 v[152:155], a[60:61], v[172:173], v[152:155]// 000000003B9C: D3D70098 0E63593C
	v_mfma_i32_16x16x32_i8 v[152:155], a[62:63], v[174:175], v[152:155]// 000000003BA4: D3D70098 0E635D3E
	ds_read_b128 v[212:215], v2 offset:9408                    // 000000003BAC: D9FE24C0 D4000002
	v_mfma_i32_16x16x32_i8 v[156:159], a[48:49], v[176:177], v[156:159]// 000000003BB4: D3D7009C 0E736130
	v_mfma_i32_16x16x32_i8 v[156:159], a[50:51], v[178:179], v[156:159]// 000000003BBC: D3D7009C 0E736532
	buffer_load_dwordx4 a[120:123], v35, s[24:27], 0 offen offset:2048// 000000003BC4: E05C1800 80867823
	v_mfma_i32_16x16x32_i8 v[156:159], a[52:53], v[180:181], v[156:159]// 000000003BCC: D3D7009C 0E736934
	v_mfma_i32_16x16x32_i8 v[156:159], a[54:55], v[182:183], v[156:159]// 000000003BD4: D3D7009C 0E736D36
	ds_read_b128 v[216:219], v2 offset:9472                    // 000000003BDC: D9FE2500 D8000002
	v_mfma_i32_16x16x32_i8 v[156:159], a[56:57], v[184:185], v[156:159]// 000000003BE4: D3D7009C 0E737138
	v_mfma_i32_16x16x32_i8 v[156:159], a[58:59], v[186:187], v[156:159]// 000000003BEC: D3D7009C 0E73753A
	buffer_load_dwordx4 a[124:127], v35, s[24:27], 0 offen offset:3072// 000000003BF4: E05C1C00 80867C23
	v_mfma_i32_16x16x32_i8 v[156:159], a[60:61], v[188:189], v[156:159]// 000000003BFC: D3D7009C 0E73793C
	v_mfma_i32_16x16x32_i8 v[156:159], a[62:63], v[190:191], v[156:159]// 000000003C04: D3D7009C 0E737D3E
	ds_read_b128 v[220:223], v2 offset:9536                    // 000000003C0C: D9FE2540 DC000002
	s_add_u32 s60, 0x300, s80                                  // 000000003C14: 803C50FF 00000300
	s_cmp_lt_u32 s60, s81                                      // 000000003C1C: BF0A513C
	s_cselect_b32 s57, s57, 0                                  // 000000003C20: 85398039
	s_add_u32 s60, 0x200, s80                                  // 000000003C24: 803C50FF 00000200
	s_cmp_lt_u32 s60, s81                                      // 000000003C2C: BF0A513C
	s_cselect_b32 s58, s58, 0                                  // 000000003C30: 853A803A
	s_add_u32 s20, s57, s20                                    // 000000003C34: 80141439
	s_addc_u32 s21, 0, s21                                     // 000000003C38: 82151580
	s_add_u32 s24, s58, s24                                    // 000000003C3C: 8018183A
	s_addc_u32 s25, 0, s25                                     // 000000003C40: 82191980
	s_addk_i32 s80, 0x100                                      // 000000003C44: B7500100
	s_cmp_lt_i32 s80, s81                                      // 000000003C48: BF045150
	s_cbranch_scc0 label_0477                                  // 000000003C4C: BF8400E3
	s_waitcnt vmcnt(8) lgkmcnt(0)                              // 000000003C50: BF8C0078
	s_barrier                                                  // 000000003C54: BF8A0000
	v_mfma_i32_16x16x32_i8 v[128:131], a[64:65], v[192:193], v[128:131]// 000000003C58: D3D70080 0E038140
	v_mfma_i32_16x16x32_i8 v[128:131], a[66:67], v[194:195], v[128:131]// 000000003C60: D3D70080 0E038542
	buffer_load_dwordx4 a[0:3], v32, s[24:27], 0 offen         // 000000003C68: E05C1000 80860020
	v_mfma_i32_16x16x32_i8 v[128:131], a[68:69], v[196:197], v[128:131]// 000000003C70: D3D70080 0E038944
	v_mfma_i32_16x16x32_i8 v[128:131], a[70:71], v[198:199], v[128:131]// 000000003C78: D3D70080 0E038D46
	buffer_load_dword v24, s[20:23], 0 offen lds               // 000000003C80: E0511000 80050018
	s_add_u32 m0, 0x100, s51                                   // 000000003C88: 807C33FF 00000100
	v_mfma_i32_16x16x32_i8 v[128:131], a[72:73], v[200:201], v[128:131]// 000000003C90: D3D70080 0E039148
	v_mfma_i32_16x16x32_i8 v[128:131], a[74:75], v[202:203], v[128:131]// 000000003C98: D3D70080 0E03954A
	buffer_load_dwordx4 a[4:7], v32, s[24:27], 0 offen offset:1024// 000000003CA0: E05C1400 80860420
	v_mfma_i32_16x16x32_i8 v[128:131], a[76:77], v[204:205], v[128:131]// 000000003CA8: D3D70080 0E03994C
	v_mfma_i32_16x16x32_i8 v[128:131], a[78:79], v[206:207], v[128:131]// 000000003CB0: D3D70080 0E039D4E
	buffer_load_dword v25, s[20:23], 0 offen lds               // 000000003CB8: E0511000 80050019
	s_add_u32 m0, 0x200, s51                                   // 000000003CC0: 807C33FF 00000200
	v_mfma_i32_16x16x32_i8 v[132:135], a[64:65], v[208:209], v[132:135]// 000000003CC8: D3D70084 0E13A140
	v_mfma_i32_16x16x32_i8 v[132:135], a[66:67], v[210:211], v[132:135]// 000000003CD0: D3D70084 0E13A542
	buffer_load_dwordx4 a[8:11], v32, s[24:27], 0 offen offset:2048// 000000003CD8: E05C1800 80860820
	v_mfma_i32_16x16x32_i8 v[132:135], a[68:69], v[212:213], v[132:135]// 000000003CE0: D3D70084 0E13A944
	v_mfma_i32_16x16x32_i8 v[132:135], a[70:71], v[214:215], v[132:135]// 000000003CE8: D3D70084 0E13AD46
	buffer_load_dword v26, s[20:23], 0 offen lds               // 000000003CF0: E0511000 8005001A
	s_add_u32 m0, 0x300, s51                                   // 000000003CF8: 807C33FF 00000300
	v_mfma_i32_16x16x32_i8 v[132:135], a[72:73], v[216:217], v[132:135]// 000000003D00: D3D70084 0E13B148
	v_mfma_i32_16x16x32_i8 v[132:135], a[74:75], v[218:219], v[132:135]// 000000003D08: D3D70084 0E13B54A
	buffer_load_dwordx4 a[12:15], v32, s[24:27], 0 offen offset:3072// 000000003D10: E05C1C00 80860C20
	v_mfma_i32_16x16x32_i8 v[132:135], a[76:77], v[220:221], v[132:135]// 000000003D18: D3D70084 0E13B94C
	v_mfma_i32_16x16x32_i8 v[132:135], a[78:79], v[222:223], v[132:135]// 000000003D20: D3D70084 0E13BD4E
	buffer_load_dword v27, s[20:23], 0 offen lds               // 000000003D28: E0511000 8005001B
	s_add_u32 m0, 0x400, s51                                   // 000000003D30: 807C33FF 00000400
	v_mfma_i32_16x16x32_i8 v[136:139], a[80:81], v[192:193], v[136:139]// 000000003D38: D3D70088 0E238150
	v_mfma_i32_16x16x32_i8 v[136:139], a[82:83], v[194:195], v[136:139]// 000000003D40: D3D70088 0E238552
	buffer_load_dwordx4 a[16:19], v33, s[24:27], 0 offen       // 000000003D48: E05C1000 80861021
	v_mfma_i32_16x16x32_i8 v[136:139], a[84:85], v[196:197], v[136:139]// 000000003D50: D3D70088 0E238954
	v_mfma_i32_16x16x32_i8 v[136:139], a[86:87], v[198:199], v[136:139]// 000000003D58: D3D70088 0E238D56
	buffer_load_dword v28, s[20:23], 0 offen lds               // 000000003D60: E0511000 8005001C
	s_add_u32 m0, 0x500, s51                                   // 000000003D68: 807C33FF 00000500
	v_mfma_i32_16x16x32_i8 v[136:139], a[88:89], v[200:201], v[136:139]// 000000003D70: D3D70088 0E239158
	v_mfma_i32_16x16x32_i8 v[136:139], a[90:91], v[202:203], v[136:139]// 000000003D78: D3D70088 0E23955A
	buffer_load_dwordx4 a[20:23], v33, s[24:27], 0 offen offset:1024// 000000003D80: E05C1400 80861421
	v_mfma_i32_16x16x32_i8 v[136:139], a[92:93], v[204:205], v[136:139]// 000000003D88: D3D70088 0E23995C
	v_mfma_i32_16x16x32_i8 v[136:139], a[94:95], v[206:207], v[136:139]// 000000003D90: D3D70088 0E239D5E
	buffer_load_dword v29, s[20:23], 0 offen lds               // 000000003D98: E0511000 8005001D
	s_add_u32 m0, 0x600, s51                                   // 000000003DA0: 807C33FF 00000600
	v_mfma_i32_16x16x32_i8 v[140:143], a[80:81], v[208:209], v[140:143]// 000000003DA8: D3D7008C 0E33A150
	v_mfma_i32_16x16x32_i8 v[140:143], a[82:83], v[210:211], v[140:143]// 000000003DB0: D3D7008C 0E33A552
	buffer_load_dwordx4 a[24:27], v33, s[24:27], 0 offen offset:2048// 000000003DB8: E05C1800 80861821
	v_mfma_i32_16x16x32_i8 v[140:143], a[84:85], v[212:213], v[140:143]// 000000003DC0: D3D7008C 0E33A954
	v_mfma_i32_16x16x32_i8 v[140:143], a[86:87], v[214:215], v[140:143]// 000000003DC8: D3D7008C 0E33AD56
	buffer_load_dword v30, s[20:23], 0 offen lds               // 000000003DD0: E0511000 8005001E
	s_add_u32 m0, 0x700, s51                                   // 000000003DD8: 807C33FF 00000700
	v_mfma_i32_16x16x32_i8 v[140:143], a[88:89], v[216:217], v[140:143]// 000000003DE0: D3D7008C 0E33B158
	v_mfma_i32_16x16x32_i8 v[140:143], a[90:91], v[218:219], v[140:143]// 000000003DE8: D3D7008C 0E33B55A
	buffer_load_dwordx4 a[28:31], v33, s[24:27], 0 offen offset:3072// 000000003DF0: E05C1C00 80861C21
	v_mfma_i32_16x16x32_i8 v[140:143], a[92:93], v[220:221], v[140:143]// 000000003DF8: D3D7008C 0E33B95C
	v_mfma_i32_16x16x32_i8 v[140:143], a[94:95], v[222:223], v[140:143]// 000000003E00: D3D7008C 0E33BD5E
	buffer_load_dword v31, s[20:23], 0 offen lds               // 000000003E08: E0511000 8005001F
	s_add_u32 m0, 0, s50                                       // 000000003E10: 807C3280
	s_waitcnt vmcnt(20)                                        // 000000003E14: BF8C4F74
	v_mfma_i32_16x16x32_i8 v[144:147], a[96:97], v[192:193], v[144:147]// 000000003E18: D3D70090 0E438160
	v_mfma_i32_16x16x32_i8 v[144:147], a[98:99], v[194:195], v[144:147]// 000000003E20: D3D70090 0E438562
	buffer_load_dwordx4 a[32:35], v34, s[24:27], 0 offen       // 000000003E28: E05C1000 80862022
	v_mfma_i32_16x16x32_i8 v[144:147], a[100:101], v[196:197], v[144:147]// 000000003E30: D3D70090 0E438964
	v_mfma_i32_16x16x32_i8 v[144:147], a[102:103], v[198:199], v[144:147]// 000000003E38: D3D70090 0E438D66
	ds_read_b128 v[160:163], v2                                // 000000003E40: D9FE0000 A0000002
	v_mfma_i32_16x16x32_i8 v[144:147], a[104:105], v[200:201], v[144:147]// 000000003E48: D3D70090 0E439168
	v_mfma_i32_16x16x32_i8 v[144:147], a[106:107], v[202:203], v[144:147]// 000000003E50: D3D70090 0E43956A
	buffer_load_dwordx4 a[36:39], v34, s[24:27], 0 offen offset:1024// 000000003E58: E05C1400 80862422
	v_mfma_i32_16x16x32_i8 v[144:147], a[108:109], v[204:205], v[144:147]// 000000003E60: D3D70090 0E43996C
	v_mfma_i32_16x16x32_i8 v[144:147], a[110:111], v[206:207], v[144:147]// 000000003E68: D3D70090 0E439D6E
	ds_read_b128 v[164:167], v2 offset:64                      // 000000003E70: D9FE0040 A4000002
	v_mfma_i32_16x16x32_i8 v[148:151], a[96:97], v[208:209], v[148:151]// 000000003E78: D3D70094 0E53A160
	v_mfma_i32_16x16x32_i8 v[148:151], a[98:99], v[210:211], v[148:151]// 000000003E80: D3D70094 0E53A562
	buffer_load_dwordx4 a[40:43], v34, s[24:27], 0 offen offset:2048// 000000003E88: E05C1800 80862822
	v_mfma_i32_16x16x32_i8 v[148:151], a[100:101], v[212:213], v[148:151]// 000000003E90: D3D70094 0E53A964
	v_mfma_i32_16x16x32_i8 v[148:151], a[102:103], v[214:215], v[148:151]// 000000003E98: D3D70094 0E53AD66
	ds_read_b128 v[168:171], v2 offset:128                     // 000000003EA0: D9FE0080 A8000002
	v_mfma_i32_16x16x32_i8 v[148:151], a[104:105], v[216:217], v[148:151]// 000000003EA8: D3D70094 0E53B168
	v_mfma_i32_16x16x32_i8 v[148:151], a[106:107], v[218:219], v[148:151]// 000000003EB0: D3D70094 0E53B56A
	buffer_load_dwordx4 a[44:47], v34, s[24:27], 0 offen offset:3072// 000000003EB8: E05C1C00 80862C22
	v_mfma_i32_16x16x32_i8 v[148:151], a[108:109], v[220:221], v[148:151]// 000000003EC0: D3D70094 0E53B96C
	v_mfma_i32_16x16x32_i8 v[148:151], a[110:111], v[222:223], v[148:151]// 000000003EC8: D3D70094 0E53BD6E
	ds_read_b128 v[172:175], v2 offset:192                     // 000000003ED0: D9FE00C0 AC000002
	s_waitcnt vmcnt(20)                                        // 000000003ED8: BF8C4F74
	v_mfma_i32_16x16x32_i8 v[152:155], a[112:113], v[192:193], v[152:155]// 000000003EDC: D3D70098 0E638170
	v_mfma_i32_16x16x32_i8 v[152:155], a[114:115], v[194:195], v[152:155]// 000000003EE4: D3D70098 0E638572
	buffer_load_dwordx4 a[48:51], v35, s[24:27], 0 offen       // 000000003EEC: E05C1000 80863023
	v_mfma_i32_16x16x32_i8 v[152:155], a[116:117], v[196:197], v[152:155]// 000000003EF4: D3D70098 0E638974
	v_mfma_i32_16x16x32_i8 v[152:155], a[118:119], v[198:199], v[152:155]// 000000003EFC: D3D70098 0E638D76
	ds_read_b128 v[176:179], v2 offset:1024                    // 000000003F04: D9FE0400 B0000002
	v_mfma_i32_16x16x32_i8 v[152:155], a[120:121], v[200:201], v[152:155]// 000000003F0C: D3D70098 0E639178
	v_mfma_i32_16x16x32_i8 v[152:155], a[122:123], v[202:203], v[152:155]// 000000003F14: D3D70098 0E63957A
	buffer_load_dwordx4 a[52:55], v35, s[24:27], 0 offen offset:1024// 000000003F1C: E05C1400 80863423
	v_mfma_i32_16x16x32_i8 v[152:155], a[124:125], v[204:205], v[152:155]// 000000003F24: D3D70098 0E63997C
	v_mfma_i32_16x16x32_i8 v[152:155], a[126:127], v[206:207], v[152:155]// 000000003F2C: D3D70098 0E639D7E
	ds_read_b128 v[180:183], v2 offset:1088                    // 000000003F34: D9FE0440 B4000002
	v_mfma_i32_16x16x32_i8 v[156:159], a[112:113], v[208:209], v[156:159]// 000000003F3C: D3D7009C 0E73A170
	v_mfma_i32_16x16x32_i8 v[156:159], a[114:115], v[210:211], v[156:159]// 000000003F44: D3D7009C 0E73A572
	buffer_load_dwordx4 a[56:59], v35, s[24:27], 0 offen offset:2048// 000000003F4C: E05C1800 80863823
	v_mfma_i32_16x16x32_i8 v[156:159], a[116:117], v[212:213], v[156:159]// 000000003F54: D3D7009C 0E73A974
	v_mfma_i32_16x16x32_i8 v[156:159], a[118:119], v[214:215], v[156:159]// 000000003F5C: D3D7009C 0E73AD76
	ds_read_b128 v[184:187], v2 offset:1152                    // 000000003F64: D9FE0480 B8000002
	v_mfma_i32_16x16x32_i8 v[156:159], a[120:121], v[216:217], v[156:159]// 000000003F6C: D3D7009C 0E73B178
	v_mfma_i32_16x16x32_i8 v[156:159], a[122:123], v[218:219], v[156:159]// 000000003F74: D3D7009C 0E73B57A
	buffer_load_dwordx4 a[60:63], v35, s[24:27], 0 offen offset:3072// 000000003F7C: E05C1C00 80863C23
	v_mfma_i32_16x16x32_i8 v[156:159], a[124:125], v[220:221], v[156:159]// 000000003F84: D3D7009C 0E73B97C
	v_mfma_i32_16x16x32_i8 v[156:159], a[126:127], v[222:223], v[156:159]// 000000003F8C: D3D7009C 0E73BD7E
	ds_read_b128 v[188:191], v2 offset:1216                    // 000000003F94: D9FE04C0 BC000002
	s_add_u32 s60, 0x300, s80                                  // 000000003F9C: 803C50FF 00000300
	s_cmp_lt_u32 s60, s81                                      // 000000003FA4: BF0A513C
	s_cselect_b32 s57, s57, 0                                  // 000000003FA8: 85398039
	s_add_u32 s60, 0x200, s80                                  // 000000003FAC: 803C50FF 00000200
	s_cmp_lt_u32 s60, s81                                      // 000000003FB4: BF0A513C
	s_cselect_b32 s58, s58, 0                                  // 000000003FB8: 853A803A
	s_add_u32 s20, s57, s20                                    // 000000003FBC: 80141439
	s_addc_u32 s21, 0, s21                                     // 000000003FC0: 82151580
	s_add_u32 s24, s58, s24                                    // 000000003FC4: 8018183A
	s_addc_u32 s25, 0, s25                                     // 000000003FC8: 82191980
	s_addk_i32 s80, 0x100                                      // 000000003FCC: B7500100
	s_cmp_lt_i32 s80, s81                                      // 000000003FD0: BF045150
	s_cbranch_scc0 label_0477                                  // 000000003FD4: BF840001
	s_branch label_02B2                                        // 000000003FD8: BF82FE3B

0000000000003fdc <label_0477>:
	s_mov_b32 s36, -1                                          // 000000003FDC: BEA400C1
	s_mov_b32 s37, -1                                          // 000000003FE0: BEA500C1
	s_mov_b64 s[60:61], 0                                      // 000000003FE4: BEBC0180
	s_cmp_lt_u32 s82, s66                                      // 000000003FE8: BF0A4252
	s_cselect_b64 s[20:21], s[36:37], s[60:61]                 // 000000003FEC: 85943C24
	s_cmp_lt_u32 s83, s66                                      // 000000003FF0: BF0A4253
	s_cselect_b64 s[22:23], s[36:37], s[60:61]                 // 000000003FF4: 85963C24
	s_cmp_lt_u32 s84, s66                                      // 000000003FF8: BF0A4254
	s_cselect_b64 s[24:25], s[36:37], s[60:61]                 // 000000003FFC: 85983C24
	s_cmp_lt_u32 s85, s66                                      // 000000004000: BF0A4255
	s_cselect_b64 s[26:27], s[36:37], s[60:61]                 // 000000004004: 859A3C24
	s_cmp_lt_u32 s86, s66                                      // 000000004008: BF0A4256
	s_cselect_b64 s[28:29], s[36:37], s[60:61]                 // 00000000400C: 859C3C24
	s_cmp_lt_u32 s87, s66                                      // 000000004010: BF0A4257
	s_cselect_b64 s[30:31], s[36:37], s[60:61]                 // 000000004014: 859E3C24
	s_cmp_lt_u32 s88, s66                                      // 000000004018: BF0A4258
	s_cselect_b64 s[32:33], s[36:37], s[60:61]                 // 00000000401C: 85A03C24
	s_cmp_lt_u32 s89, s66                                      // 000000004020: BF0A4259
	s_cselect_b64 s[34:35], s[36:37], s[60:61]                 // 000000004024: 85A23C24
	v_cvt_f32_i32_e32 v128, v128                               // 000000004028: 7F000B80
	v_cvt_f32_i32_e32 v129, v129                               // 00000000402C: 7F020B81
	v_cvt_f32_i32_e32 v130, v130                               // 000000004030: 7F040B82
	v_cvt_f32_i32_e32 v131, v131                               // 000000004034: 7F060B83
	v_mul_f32_e32 v128, v13, v128                              // 000000004038: 0B01010D
	v_mul_f32_e32 v129, v13, v129                              // 00000000403C: 0B03030D
	v_mul_f32_e32 v130, v13, v130                              // 000000004040: 0B05050D
	v_mul_f32_e32 v131, v13, v131                              // 000000004044: 0B07070D
	v_mul_f32_dpp v128, v15, v128 row_newbcast:0 row_mask:0xf bank_mask:0xf// 000000004048: 0B0100FA FF01500F
	v_mul_f32_dpp v129, v15, v129 row_newbcast:1 row_mask:0xf bank_mask:0xf// 000000004050: 0B0302FA FF01510F
	v_mul_f32_dpp v130, v15, v130 row_newbcast:2 row_mask:0xf bank_mask:0xf// 000000004058: 0B0504FA FF01520F
	v_mul_f32_dpp v131, v15, v131 row_newbcast:3 row_mask:0xf bank_mask:0xf// 000000004060: 0B0706FA FF01530F
	v_cvt_f32_i32_e32 v132, v132                               // 000000004068: 7F080B84
	v_cvt_f32_i32_e32 v133, v133                               // 00000000406C: 7F0A0B85
	v_cvt_f32_i32_e32 v134, v134                               // 000000004070: 7F0C0B86
	v_cvt_f32_i32_e32 v135, v135                               // 000000004074: 7F0E0B87
	v_mul_f32_e32 v132, v14, v132                              // 000000004078: 0B09090E
	v_mul_f32_e32 v133, v14, v133                              // 00000000407C: 0B0B0B0E
	v_mul_f32_e32 v134, v14, v134                              // 000000004080: 0B0D0D0E
	v_mul_f32_e32 v135, v14, v135                              // 000000004084: 0B0F0F0E
	v_mul_f32_dpp v132, v15, v132 row_newbcast:0 row_mask:0xf bank_mask:0xf// 000000004088: 0B0908FA FF01500F
	v_mul_f32_dpp v133, v15, v133 row_newbcast:1 row_mask:0xf bank_mask:0xf// 000000004090: 0B0B0AFA FF01510F
	v_mul_f32_dpp v134, v15, v134 row_newbcast:2 row_mask:0xf bank_mask:0xf// 000000004098: 0B0D0CFA FF01520F
	v_mul_f32_dpp v135, v15, v135 row_newbcast:3 row_mask:0xf bank_mask:0xf// 0000000040A0: 0B0F0EFA FF01530F
	v_cvt_f32_i32_e32 v136, v136                               // 0000000040A8: 7F100B88
	v_cvt_f32_i32_e32 v137, v137                               // 0000000040AC: 7F120B89
	v_cvt_f32_i32_e32 v138, v138                               // 0000000040B0: 7F140B8A
	v_cvt_f32_i32_e32 v139, v139                               // 0000000040B4: 7F160B8B
	v_mul_f32_e32 v136, v13, v136                              // 0000000040B8: 0B11110D
	v_mul_f32_e32 v137, v13, v137                              // 0000000040BC: 0B13130D
	v_mul_f32_e32 v138, v13, v138                              // 0000000040C0: 0B15150D
	v_mul_f32_e32 v139, v13, v139                              // 0000000040C4: 0B17170D
	v_mul_f32_dpp v136, v15, v136 row_newbcast:4 row_mask:0xf bank_mask:0xf// 0000000040C8: 0B1110FA FF01540F
	v_mul_f32_dpp v137, v15, v137 row_newbcast:5 row_mask:0xf bank_mask:0xf// 0000000040D0: 0B1312FA FF01550F
	v_mul_f32_dpp v138, v15, v138 row_newbcast:6 row_mask:0xf bank_mask:0xf// 0000000040D8: 0B1514FA FF01560F
	v_mul_f32_dpp v139, v15, v139 row_newbcast:7 row_mask:0xf bank_mask:0xf// 0000000040E0: 0B1716FA FF01570F
	v_cvt_f32_i32_e32 v140, v140                               // 0000000040E8: 7F180B8C
	v_cvt_f32_i32_e32 v141, v141                               // 0000000040EC: 7F1A0B8D
	v_cvt_f32_i32_e32 v142, v142                               // 0000000040F0: 7F1C0B8E
	v_cvt_f32_i32_e32 v143, v143                               // 0000000040F4: 7F1E0B8F
	v_mul_f32_e32 v140, v14, v140                              // 0000000040F8: 0B19190E
	v_mul_f32_e32 v141, v14, v141                              // 0000000040FC: 0B1B1B0E
	v_mul_f32_e32 v142, v14, v142                              // 000000004100: 0B1D1D0E
	v_mul_f32_e32 v143, v14, v143                              // 000000004104: 0B1F1F0E
	v_mul_f32_dpp v140, v15, v140 row_newbcast:4 row_mask:0xf bank_mask:0xf// 000000004108: 0B1918FA FF01540F
	v_mul_f32_dpp v141, v15, v141 row_newbcast:5 row_mask:0xf bank_mask:0xf// 000000004110: 0B1B1AFA FF01550F
	v_mul_f32_dpp v142, v15, v142 row_newbcast:6 row_mask:0xf bank_mask:0xf// 000000004118: 0B1D1CFA FF01560F
	v_mul_f32_dpp v143, v15, v143 row_newbcast:7 row_mask:0xf bank_mask:0xf// 000000004120: 0B1F1EFA FF01570F
	v_cvt_f32_i32_e32 v144, v144                               // 000000004128: 7F200B90
	v_cvt_f32_i32_e32 v145, v145                               // 00000000412C: 7F220B91
	v_cvt_f32_i32_e32 v146, v146                               // 000000004130: 7F240B92
	v_cvt_f32_i32_e32 v147, v147                               // 000000004134: 7F260B93
	v_mul_f32_e32 v144, v13, v144                              // 000000004138: 0B21210D
	v_mul_f32_e32 v145, v13, v145                              // 00000000413C: 0B23230D
	v_mul_f32_e32 v146, v13, v146                              // 000000004140: 0B25250D
	v_mul_f32_e32 v147, v13, v147                              // 000000004144: 0B27270D
	v_mul_f32_dpp v144, v15, v144 row_newbcast:8 row_mask:0xf bank_mask:0xf// 000000004148: 0B2120FA FF01580F
	v_mul_f32_dpp v145, v15, v145 row_newbcast:9 row_mask:0xf bank_mask:0xf// 000000004150: 0B2322FA FF01590F
	v_mul_f32_dpp v146, v15, v146 row_newbcast:10 row_mask:0xf bank_mask:0xf// 000000004158: 0B2524FA FF015A0F
	v_mul_f32_dpp v147, v15, v147 row_newbcast:11 row_mask:0xf bank_mask:0xf// 000000004160: 0B2726FA FF015B0F
	v_cvt_f32_i32_e32 v148, v148                               // 000000004168: 7F280B94
	v_cvt_f32_i32_e32 v149, v149                               // 00000000416C: 7F2A0B95
	v_cvt_f32_i32_e32 v150, v150                               // 000000004170: 7F2C0B96
	v_cvt_f32_i32_e32 v151, v151                               // 000000004174: 7F2E0B97
	v_mul_f32_e32 v148, v14, v148                              // 000000004178: 0B29290E
	v_mul_f32_e32 v149, v14, v149                              // 00000000417C: 0B2B2B0E
	v_mul_f32_e32 v150, v14, v150                              // 000000004180: 0B2D2D0E
	v_mul_f32_e32 v151, v14, v151                              // 000000004184: 0B2F2F0E
	v_mul_f32_dpp v148, v15, v148 row_newbcast:8 row_mask:0xf bank_mask:0xf// 000000004188: 0B2928FA FF01580F
	v_mul_f32_dpp v149, v15, v149 row_newbcast:9 row_mask:0xf bank_mask:0xf// 000000004190: 0B2B2AFA FF01590F
	v_mul_f32_dpp v150, v15, v150 row_newbcast:10 row_mask:0xf bank_mask:0xf// 000000004198: 0B2D2CFA FF015A0F
	v_mul_f32_dpp v151, v15, v151 row_newbcast:11 row_mask:0xf bank_mask:0xf// 0000000041A0: 0B2F2EFA FF015B0F
	v_cvt_f32_i32_e32 v152, v152                               // 0000000041A8: 7F300B98
	v_cvt_f32_i32_e32 v153, v153                               // 0000000041AC: 7F320B99
	v_cvt_f32_i32_e32 v154, v154                               // 0000000041B0: 7F340B9A
	v_cvt_f32_i32_e32 v155, v155                               // 0000000041B4: 7F360B9B
	v_mul_f32_e32 v152, v13, v152                              // 0000000041B8: 0B31310D
	v_mul_f32_e32 v153, v13, v153                              // 0000000041BC: 0B33330D
	v_mul_f32_e32 v154, v13, v154                              // 0000000041C0: 0B35350D
	v_mul_f32_e32 v155, v13, v155                              // 0000000041C4: 0B37370D
	v_mul_f32_dpp v152, v15, v152 row_newbcast:12 row_mask:0xf bank_mask:0xf// 0000000041C8: 0B3130FA FF015C0F
	v_mul_f32_dpp v153, v15, v153 row_newbcast:13 row_mask:0xf bank_mask:0xf// 0000000041D0: 0B3332FA FF015D0F
	v_mul_f32_dpp v154, v15, v154 row_newbcast:14 row_mask:0xf bank_mask:0xf// 0000000041D8: 0B3534FA FF015E0F
	v_mul_f32_dpp v155, v15, v155 row_newbcast:15 row_mask:0xf bank_mask:0xf// 0000000041E0: 0B3736FA FF015F0F
	v_cvt_f32_i32_e32 v156, v156                               // 0000000041E8: 7F380B9C
	v_cvt_f32_i32_e32 v157, v157                               // 0000000041EC: 7F3A0B9D
	v_cvt_f32_i32_e32 v158, v158                               // 0000000041F0: 7F3C0B9E
	v_cvt_f32_i32_e32 v159, v159                               // 0000000041F4: 7F3E0B9F
	v_mul_f32_e32 v156, v14, v156                              // 0000000041F8: 0B39390E
	v_mul_f32_e32 v157, v14, v157                              // 0000000041FC: 0B3B3B0E
	v_mul_f32_e32 v158, v14, v158                              // 000000004200: 0B3D3D0E
	v_mul_f32_e32 v159, v14, v159                              // 000000004204: 0B3F3F0E
	v_mul_f32_dpp v156, v15, v156 row_newbcast:12 row_mask:0xf bank_mask:0xf// 000000004208: 0B3938FA FF015C0F
	v_mul_f32_dpp v157, v15, v157 row_newbcast:13 row_mask:0xf bank_mask:0xf// 000000004210: 0B3B3AFA FF015D0F
	v_mul_f32_dpp v158, v15, v158 row_newbcast:14 row_mask:0xf bank_mask:0xf// 000000004218: 0B3D3CFA FF015E0F
	v_mul_f32_dpp v159, v15, v159 row_newbcast:15 row_mask:0xf bank_mask:0xf// 000000004220: 0B3F3EFA FF015F0F
	s_waitcnt vmcnt(12)                                        // 000000004228: BF8C0F7C
	buffer_load_dwordx4 a[0:3], v36, s[12:15], 0 offen         // 00000000422C: E05C1000 80830024
	v_mul_f32_e32 v44, v128, v128                              // 000000004234: 0A590180
	v_mul_f32_e32 v45, v129, v129                              // 000000004238: 0A5B0381
	v_mul_f32_e32 v46, v130, v130                              // 00000000423C: 0A5D0582
	v_mul_f32_e32 v47, v131, v131                              // 000000004240: 0A5F0783
	v_fma_f32 v44, v44, s77, v1                                // 000000004244: D1CB002C 04049B2C
	v_fma_f32 v45, v45, s77, v1                                // 00000000424C: D1CB002D 04049B2D
	v_fma_f32 v46, v46, s77, v1                                // 000000004254: D1CB002E 04049B2E
	v_fma_f32 v47, v47, s77, v1                                // 00000000425C: D1CB002F 04049B2F
	v_mul_f32_e32 v44, v44, v128                               // 000000004264: 0A59012C
	v_mul_f32_e32 v45, v45, v129                               // 000000004268: 0A5B032D
	v_mul_f32_e32 v46, v46, v130                               // 00000000426C: 0A5D052E
	v_mul_f32_e32 v47, v47, v131                               // 000000004270: 0A5F072F
	v_mul_f32_e64 v44, v44, s6                                 // 000000004274: D105002C 00000D2C
	v_mul_f32_e64 v45, v45, s6                                 // 00000000427C: D105002D 00000D2D
	v_mul_f32_e64 v46, v46, s6                                 // 000000004284: D105002E 00000D2E
	v_mul_f32_e64 v47, v47, s6                                 // 00000000428C: D105002F 00000D2F
	v_exp_f32_e32 v44, v44                                     // 000000004294: 7E58412C
	v_exp_f32_e32 v45, v45                                     // 000000004298: 7E5A412D
	v_exp_f32_e32 v46, v46                                     // 00000000429C: 7E5C412E
	v_exp_f32_e32 v47, v47                                     // 0000000042A0: 7E5E412F
	buffer_load_dwordx4 a[4:7], v37, s[12:15], 0 offen         // 0000000042A4: E05C1000 80830425
	v_add_f32_e64 v44, v44, 1.0                                // 0000000042AC: D101002C 0001E52C
	v_add_f32_e64 v45, v45, 1.0                                // 0000000042B4: D101002D 0001E52D
	v_add_f32_e64 v46, v46, 1.0                                // 0000000042BC: D101002E 0001E52E
	v_add_f32_e64 v47, v47, 1.0                                // 0000000042C4: D101002F 0001E52F
	v_rcp_f32_e32 v44, v44                                     // 0000000042CC: 7E58452C
	v_rcp_f32_e32 v45, v45                                     // 0000000042D0: 7E5A452D
	v_rcp_f32_e32 v46, v46                                     // 0000000042D4: 7E5C452E
	v_rcp_f32_e32 v47, v47                                     // 0000000042D8: 7E5E452F
	v_mul_f32_e32 v128, v128, v44                              // 0000000042DC: 0B005980
	v_mul_f32_e32 v129, v129, v45                              // 0000000042E0: 0B025B81
	v_mul_f32_e32 v130, v130, v46                              // 0000000042E4: 0B045D82
	v_mul_f32_e32 v131, v131, v47                              // 0000000042E8: 0B065F83
	buffer_load_dwordx4 a[8:11], v38, s[12:15], 0 offen        // 0000000042EC: E05C1000 80830826
	v_mul_f32_e32 v44, v132, v132                              // 0000000042F4: 0A590984
	v_mul_f32_e32 v45, v133, v133                              // 0000000042F8: 0A5B0B85
	v_mul_f32_e32 v46, v134, v134                              // 0000000042FC: 0A5D0D86
	v_mul_f32_e32 v47, v135, v135                              // 000000004300: 0A5F0F87
	v_fma_f32 v44, v44, s77, v1                                // 000000004304: D1CB002C 04049B2C
	v_fma_f32 v45, v45, s77, v1                                // 00000000430C: D1CB002D 04049B2D
	v_fma_f32 v46, v46, s77, v1                                // 000000004314: D1CB002E 04049B2E
	v_fma_f32 v47, v47, s77, v1                                // 00000000431C: D1CB002F 04049B2F
	v_mul_f32_e32 v44, v44, v132                               // 000000004324: 0A59092C
	v_mul_f32_e32 v45, v45, v133                               // 000000004328: 0A5B0B2D
	v_mul_f32_e32 v46, v46, v134                               // 00000000432C: 0A5D0D2E
	v_mul_f32_e32 v47, v47, v135                               // 000000004330: 0A5F0F2F
	v_mul_f32_e64 v44, v44, s6                                 // 000000004334: D105002C 00000D2C
	v_mul_f32_e64 v45, v45, s6                                 // 00000000433C: D105002D 00000D2D
	v_mul_f32_e64 v46, v46, s6                                 // 000000004344: D105002E 00000D2E
	v_mul_f32_e64 v47, v47, s6                                 // 00000000434C: D105002F 00000D2F
	v_exp_f32_e32 v44, v44                                     // 000000004354: 7E58412C
	v_exp_f32_e32 v45, v45                                     // 000000004358: 7E5A412D
	v_exp_f32_e32 v46, v46                                     // 00000000435C: 7E5C412E
	v_exp_f32_e32 v47, v47                                     // 000000004360: 7E5E412F
	buffer_load_dwordx4 a[12:15], v39, s[12:15], 0 offen       // 000000004364: E05C1000 80830C27
	s_add_u32 s12, s78, s12                                    // 00000000436C: 800C0C4E
	s_addc_u32 s13, 0, s13                                     // 000000004370: 820D0D80
	v_add_f32_e64 v44, v44, 1.0                                // 000000004374: D101002C 0001E52C
	v_add_f32_e64 v45, v45, 1.0                                // 00000000437C: D101002D 0001E52D
	v_add_f32_e64 v46, v46, 1.0                                // 000000004384: D101002E 0001E52E
	v_add_f32_e64 v47, v47, 1.0                                // 00000000438C: D101002F 0001E52F
	v_rcp_f32_e32 v44, v44                                     // 000000004394: 7E58452C
	v_rcp_f32_e32 v45, v45                                     // 000000004398: 7E5A452D
	v_rcp_f32_e32 v46, v46                                     // 00000000439C: 7E5C452E
	v_rcp_f32_e32 v47, v47                                     // 0000000043A0: 7E5E452F
	v_mul_f32_e32 v132, v132, v44                              // 0000000043A4: 0B085984
	v_mul_f32_e32 v133, v133, v45                              // 0000000043A8: 0B0A5B85
	v_mul_f32_e32 v134, v134, v46                              // 0000000043AC: 0B0C5D86
	v_mul_f32_e32 v135, v135, v47                              // 0000000043B0: 0B0E5F87
	s_waitcnt vmcnt(12)                                        // 0000000043B4: BF8C0F7C
	buffer_load_dwordx4 a[16:19], v36, s[12:15], 0 offen       // 0000000043B8: E05C1000 80831024
	v_mul_f32_e32 v44, v136, v136                              // 0000000043C0: 0A591188
	v_mul_f32_e32 v45, v137, v137                              // 0000000043C4: 0A5B1389
	v_mul_f32_e32 v46, v138, v138                              // 0000000043C8: 0A5D158A
	v_mul_f32_e32 v47, v139, v139                              // 0000000043CC: 0A5F178B
	v_fma_f32 v44, v44, s77, v1                                // 0000000043D0: D1CB002C 04049B2C
	v_fma_f32 v45, v45, s77, v1                                // 0000000043D8: D1CB002D 04049B2D
	v_fma_f32 v46, v46, s77, v1                                // 0000000043E0: D1CB002E 04049B2E
	v_fma_f32 v47, v47, s77, v1                                // 0000000043E8: D1CB002F 04049B2F
	v_mul_f32_e32 v44, v44, v136                               // 0000000043F0: 0A59112C
	v_mul_f32_e32 v45, v45, v137                               // 0000000043F4: 0A5B132D
	v_mul_f32_e32 v46, v46, v138                               // 0000000043F8: 0A5D152E
	v_mul_f32_e32 v47, v47, v139                               // 0000000043FC: 0A5F172F
	v_mul_f32_e64 v44, v44, s6                                 // 000000004400: D105002C 00000D2C
	v_mul_f32_e64 v45, v45, s6                                 // 000000004408: D105002D 00000D2D
	v_mul_f32_e64 v46, v46, s6                                 // 000000004410: D105002E 00000D2E
	v_mul_f32_e64 v47, v47, s6                                 // 000000004418: D105002F 00000D2F
	v_exp_f32_e32 v44, v44                                     // 000000004420: 7E58412C
	v_exp_f32_e32 v45, v45                                     // 000000004424: 7E5A412D
	v_exp_f32_e32 v46, v46                                     // 000000004428: 7E5C412E
	v_exp_f32_e32 v47, v47                                     // 00000000442C: 7E5E412F
	buffer_load_dwordx4 a[20:23], v37, s[12:15], 0 offen       // 000000004430: E05C1000 80831425
	v_add_f32_e64 v44, v44, 1.0                                // 000000004438: D101002C 0001E52C
	v_add_f32_e64 v45, v45, 1.0                                // 000000004440: D101002D 0001E52D
	v_add_f32_e64 v46, v46, 1.0                                // 000000004448: D101002E 0001E52E
	v_add_f32_e64 v47, v47, 1.0                                // 000000004450: D101002F 0001E52F
	v_rcp_f32_e32 v44, v44                                     // 000000004458: 7E58452C
	v_rcp_f32_e32 v45, v45                                     // 00000000445C: 7E5A452D
	v_rcp_f32_e32 v46, v46                                     // 000000004460: 7E5C452E
	v_rcp_f32_e32 v47, v47                                     // 000000004464: 7E5E452F
	v_mul_f32_e32 v136, v136, v44                              // 000000004468: 0B105988
	v_mul_f32_e32 v137, v137, v45                              // 00000000446C: 0B125B89
	v_mul_f32_e32 v138, v138, v46                              // 000000004470: 0B145D8A
	v_mul_f32_e32 v139, v139, v47                              // 000000004474: 0B165F8B
	buffer_load_dwordx4 a[24:27], v38, s[12:15], 0 offen       // 000000004478: E05C1000 80831826
	v_mul_f32_e32 v44, v140, v140                              // 000000004480: 0A59198C
	v_mul_f32_e32 v45, v141, v141                              // 000000004484: 0A5B1B8D
	v_mul_f32_e32 v46, v142, v142                              // 000000004488: 0A5D1D8E
	v_mul_f32_e32 v47, v143, v143                              // 00000000448C: 0A5F1F8F
	v_fma_f32 v44, v44, s77, v1                                // 000000004490: D1CB002C 04049B2C
	v_fma_f32 v45, v45, s77, v1                                // 000000004498: D1CB002D 04049B2D
	v_fma_f32 v46, v46, s77, v1                                // 0000000044A0: D1CB002E 04049B2E
	v_fma_f32 v47, v47, s77, v1                                // 0000000044A8: D1CB002F 04049B2F
	v_mul_f32_e32 v44, v44, v140                               // 0000000044B0: 0A59192C
	v_mul_f32_e32 v45, v45, v141                               // 0000000044B4: 0A5B1B2D
	v_mul_f32_e32 v46, v46, v142                               // 0000000044B8: 0A5D1D2E
	v_mul_f32_e32 v47, v47, v143                               // 0000000044BC: 0A5F1F2F
	v_mul_f32_e64 v44, v44, s6                                 // 0000000044C0: D105002C 00000D2C
	v_mul_f32_e64 v45, v45, s6                                 // 0000000044C8: D105002D 00000D2D
	v_mul_f32_e64 v46, v46, s6                                 // 0000000044D0: D105002E 00000D2E
	v_mul_f32_e64 v47, v47, s6                                 // 0000000044D8: D105002F 00000D2F
	v_exp_f32_e32 v44, v44                                     // 0000000044E0: 7E58412C
	v_exp_f32_e32 v45, v45                                     // 0000000044E4: 7E5A412D
	v_exp_f32_e32 v46, v46                                     // 0000000044E8: 7E5C412E
	v_exp_f32_e32 v47, v47                                     // 0000000044EC: 7E5E412F
	buffer_load_dwordx4 a[28:31], v39, s[12:15], 0 offen       // 0000000044F0: E05C1000 80831C27
	s_add_u32 s12, s78, s12                                    // 0000000044F8: 800C0C4E
	s_addc_u32 s13, 0, s13                                     // 0000000044FC: 820D0D80
	v_add_f32_e64 v44, v44, 1.0                                // 000000004500: D101002C 0001E52C
	v_add_f32_e64 v45, v45, 1.0                                // 000000004508: D101002D 0001E52D
	v_add_f32_e64 v46, v46, 1.0                                // 000000004510: D101002E 0001E52E
	v_add_f32_e64 v47, v47, 1.0                                // 000000004518: D101002F 0001E52F
	v_rcp_f32_e32 v44, v44                                     // 000000004520: 7E58452C
	v_rcp_f32_e32 v45, v45                                     // 000000004524: 7E5A452D
	v_rcp_f32_e32 v46, v46                                     // 000000004528: 7E5C452E
	v_rcp_f32_e32 v47, v47                                     // 00000000452C: 7E5E452F
	v_mul_f32_e32 v140, v140, v44                              // 000000004530: 0B18598C
	v_mul_f32_e32 v141, v141, v45                              // 000000004534: 0B1A5B8D
	v_mul_f32_e32 v142, v142, v46                              // 000000004538: 0B1C5D8E
	v_mul_f32_e32 v143, v143, v47                              // 00000000453C: 0B1E5F8F
	s_waitcnt vmcnt(12)                                        // 000000004540: BF8C0F7C
	buffer_load_dwordx4 a[32:35], v36, s[12:15], 0 offen       // 000000004544: E05C1000 80832024
	v_mul_f32_e32 v44, v144, v144                              // 00000000454C: 0A592190
	v_mul_f32_e32 v45, v145, v145                              // 000000004550: 0A5B2391
	v_mul_f32_e32 v46, v146, v146                              // 000000004554: 0A5D2592
	v_mul_f32_e32 v47, v147, v147                              // 000000004558: 0A5F2793
	v_fma_f32 v44, v44, s77, v1                                // 00000000455C: D1CB002C 04049B2C
	v_fma_f32 v45, v45, s77, v1                                // 000000004564: D1CB002D 04049B2D
	v_fma_f32 v46, v46, s77, v1                                // 00000000456C: D1CB002E 04049B2E
	v_fma_f32 v47, v47, s77, v1                                // 000000004574: D1CB002F 04049B2F
	v_mul_f32_e32 v44, v44, v144                               // 00000000457C: 0A59212C
	v_mul_f32_e32 v45, v45, v145                               // 000000004580: 0A5B232D
	v_mul_f32_e32 v46, v46, v146                               // 000000004584: 0A5D252E
	v_mul_f32_e32 v47, v47, v147                               // 000000004588: 0A5F272F
	v_mul_f32_e64 v44, v44, s6                                 // 00000000458C: D105002C 00000D2C
	v_mul_f32_e64 v45, v45, s6                                 // 000000004594: D105002D 00000D2D
	v_mul_f32_e64 v46, v46, s6                                 // 00000000459C: D105002E 00000D2E
	v_mul_f32_e64 v47, v47, s6                                 // 0000000045A4: D105002F 00000D2F
	v_exp_f32_e32 v44, v44                                     // 0000000045AC: 7E58412C
	v_exp_f32_e32 v45, v45                                     // 0000000045B0: 7E5A412D
	v_exp_f32_e32 v46, v46                                     // 0000000045B4: 7E5C412E
	v_exp_f32_e32 v47, v47                                     // 0000000045B8: 7E5E412F
	buffer_load_dwordx4 a[36:39], v37, s[12:15], 0 offen       // 0000000045BC: E05C1000 80832425
	v_add_f32_e64 v44, v44, 1.0                                // 0000000045C4: D101002C 0001E52C
	v_add_f32_e64 v45, v45, 1.0                                // 0000000045CC: D101002D 0001E52D
	v_add_f32_e64 v46, v46, 1.0                                // 0000000045D4: D101002E 0001E52E
	v_add_f32_e64 v47, v47, 1.0                                // 0000000045DC: D101002F 0001E52F
	v_rcp_f32_e32 v44, v44                                     // 0000000045E4: 7E58452C
	v_rcp_f32_e32 v45, v45                                     // 0000000045E8: 7E5A452D
	v_rcp_f32_e32 v46, v46                                     // 0000000045EC: 7E5C452E
	v_rcp_f32_e32 v47, v47                                     // 0000000045F0: 7E5E452F
	v_mul_f32_e32 v144, v144, v44                              // 0000000045F4: 0B205990
	v_mul_f32_e32 v145, v145, v45                              // 0000000045F8: 0B225B91
	v_mul_f32_e32 v146, v146, v46                              // 0000000045FC: 0B245D92
	v_mul_f32_e32 v147, v147, v47                              // 000000004600: 0B265F93
	buffer_load_dwordx4 a[40:43], v38, s[12:15], 0 offen       // 000000004604: E05C1000 80832826
	v_mul_f32_e32 v44, v148, v148                              // 00000000460C: 0A592994
	v_mul_f32_e32 v45, v149, v149                              // 000000004610: 0A5B2B95
	v_mul_f32_e32 v46, v150, v150                              // 000000004614: 0A5D2D96
	v_mul_f32_e32 v47, v151, v151                              // 000000004618: 0A5F2F97
	v_fma_f32 v44, v44, s77, v1                                // 00000000461C: D1CB002C 04049B2C
	v_fma_f32 v45, v45, s77, v1                                // 000000004624: D1CB002D 04049B2D
	v_fma_f32 v46, v46, s77, v1                                // 00000000462C: D1CB002E 04049B2E
	v_fma_f32 v47, v47, s77, v1                                // 000000004634: D1CB002F 04049B2F
	v_mul_f32_e32 v44, v44, v148                               // 00000000463C: 0A59292C
	v_mul_f32_e32 v45, v45, v149                               // 000000004640: 0A5B2B2D
	v_mul_f32_e32 v46, v46, v150                               // 000000004644: 0A5D2D2E
	v_mul_f32_e32 v47, v47, v151                               // 000000004648: 0A5F2F2F
	v_mul_f32_e64 v44, v44, s6                                 // 00000000464C: D105002C 00000D2C
	v_mul_f32_e64 v45, v45, s6                                 // 000000004654: D105002D 00000D2D
	v_mul_f32_e64 v46, v46, s6                                 // 00000000465C: D105002E 00000D2E
	v_mul_f32_e64 v47, v47, s6                                 // 000000004664: D105002F 00000D2F
	v_exp_f32_e32 v44, v44                                     // 00000000466C: 7E58412C
	v_exp_f32_e32 v45, v45                                     // 000000004670: 7E5A412D
	v_exp_f32_e32 v46, v46                                     // 000000004674: 7E5C412E
	v_exp_f32_e32 v47, v47                                     // 000000004678: 7E5E412F
	buffer_load_dwordx4 a[44:47], v39, s[12:15], 0 offen       // 00000000467C: E05C1000 80832C27
	s_add_u32 s12, s78, s12                                    // 000000004684: 800C0C4E
	s_addc_u32 s13, 0, s13                                     // 000000004688: 820D0D80
	v_add_f32_e64 v44, v44, 1.0                                // 00000000468C: D101002C 0001E52C
	v_add_f32_e64 v45, v45, 1.0                                // 000000004694: D101002D 0001E52D
	v_add_f32_e64 v46, v46, 1.0                                // 00000000469C: D101002E 0001E52E
	v_add_f32_e64 v47, v47, 1.0                                // 0000000046A4: D101002F 0001E52F
	v_rcp_f32_e32 v44, v44                                     // 0000000046AC: 7E58452C
	v_rcp_f32_e32 v45, v45                                     // 0000000046B0: 7E5A452D
	v_rcp_f32_e32 v46, v46                                     // 0000000046B4: 7E5C452E
	v_rcp_f32_e32 v47, v47                                     // 0000000046B8: 7E5E452F
	v_mul_f32_e32 v148, v148, v44                              // 0000000046BC: 0B285994
	v_mul_f32_e32 v149, v149, v45                              // 0000000046C0: 0B2A5B95
	v_mul_f32_e32 v150, v150, v46                              // 0000000046C4: 0B2C5D96
	v_mul_f32_e32 v151, v151, v47                              // 0000000046C8: 0B2E5F97
	s_waitcnt vmcnt(12)                                        // 0000000046CC: BF8C0F7C
	buffer_load_dwordx4 a[48:51], v36, s[12:15], 0 offen       // 0000000046D0: E05C1000 80833024
	v_mul_f32_e32 v44, v152, v152                              // 0000000046D8: 0A593198
	v_mul_f32_e32 v45, v153, v153                              // 0000000046DC: 0A5B3399
	v_mul_f32_e32 v46, v154, v154                              // 0000000046E0: 0A5D359A
	v_mul_f32_e32 v47, v155, v155                              // 0000000046E4: 0A5F379B
	v_fma_f32 v44, v44, s77, v1                                // 0000000046E8: D1CB002C 04049B2C
	v_fma_f32 v45, v45, s77, v1                                // 0000000046F0: D1CB002D 04049B2D
	v_fma_f32 v46, v46, s77, v1                                // 0000000046F8: D1CB002E 04049B2E
	v_fma_f32 v47, v47, s77, v1                                // 000000004700: D1CB002F 04049B2F
	v_mul_f32_e32 v44, v44, v152                               // 000000004708: 0A59312C
	v_mul_f32_e32 v45, v45, v153                               // 00000000470C: 0A5B332D
	v_mul_f32_e32 v46, v46, v154                               // 000000004710: 0A5D352E
	v_mul_f32_e32 v47, v47, v155                               // 000000004714: 0A5F372F
	v_mul_f32_e64 v44, v44, s6                                 // 000000004718: D105002C 00000D2C
	v_mul_f32_e64 v45, v45, s6                                 // 000000004720: D105002D 00000D2D
	v_mul_f32_e64 v46, v46, s6                                 // 000000004728: D105002E 00000D2E
	v_mul_f32_e64 v47, v47, s6                                 // 000000004730: D105002F 00000D2F
	v_exp_f32_e32 v44, v44                                     // 000000004738: 7E58412C
	v_exp_f32_e32 v45, v45                                     // 00000000473C: 7E5A412D
	v_exp_f32_e32 v46, v46                                     // 000000004740: 7E5C412E
	v_exp_f32_e32 v47, v47                                     // 000000004744: 7E5E412F
	buffer_load_dwordx4 a[52:55], v37, s[12:15], 0 offen       // 000000004748: E05C1000 80833425
	v_add_f32_e64 v44, v44, 1.0                                // 000000004750: D101002C 0001E52C
	v_add_f32_e64 v45, v45, 1.0                                // 000000004758: D101002D 0001E52D
	v_add_f32_e64 v46, v46, 1.0                                // 000000004760: D101002E 0001E52E
	v_add_f32_e64 v47, v47, 1.0                                // 000000004768: D101002F 0001E52F
	v_rcp_f32_e32 v44, v44                                     // 000000004770: 7E58452C
	v_rcp_f32_e32 v45, v45                                     // 000000004774: 7E5A452D
	v_rcp_f32_e32 v46, v46                                     // 000000004778: 7E5C452E
	v_rcp_f32_e32 v47, v47                                     // 00000000477C: 7E5E452F
	v_mul_f32_e32 v152, v152, v44                              // 000000004780: 0B305998
	v_mul_f32_e32 v153, v153, v45                              // 000000004784: 0B325B99
	v_mul_f32_e32 v154, v154, v46                              // 000000004788: 0B345D9A
	v_mul_f32_e32 v155, v155, v47                              // 00000000478C: 0B365F9B
	buffer_load_dwordx4 a[56:59], v38, s[12:15], 0 offen       // 000000004790: E05C1000 80833826
	v_mul_f32_e32 v44, v156, v156                              // 000000004798: 0A59399C
	v_mul_f32_e32 v45, v157, v157                              // 00000000479C: 0A5B3B9D
	v_mul_f32_e32 v46, v158, v158                              // 0000000047A0: 0A5D3D9E
	v_mul_f32_e32 v47, v159, v159                              // 0000000047A4: 0A5F3F9F
	v_fma_f32 v44, v44, s77, v1                                // 0000000047A8: D1CB002C 04049B2C
	v_fma_f32 v45, v45, s77, v1                                // 0000000047B0: D1CB002D 04049B2D
	v_fma_f32 v46, v46, s77, v1                                // 0000000047B8: D1CB002E 04049B2E
	v_fma_f32 v47, v47, s77, v1                                // 0000000047C0: D1CB002F 04049B2F
	v_mul_f32_e32 v44, v44, v156                               // 0000000047C8: 0A59392C
	v_mul_f32_e32 v45, v45, v157                               // 0000000047CC: 0A5B3B2D
	v_mul_f32_e32 v46, v46, v158                               // 0000000047D0: 0A5D3D2E
	v_mul_f32_e32 v47, v47, v159                               // 0000000047D4: 0A5F3F2F
	v_mul_f32_e64 v44, v44, s6                                 // 0000000047D8: D105002C 00000D2C
	v_mul_f32_e64 v45, v45, s6                                 // 0000000047E0: D105002D 00000D2D
	v_mul_f32_e64 v46, v46, s6                                 // 0000000047E8: D105002E 00000D2E
	v_mul_f32_e64 v47, v47, s6                                 // 0000000047F0: D105002F 00000D2F
	v_exp_f32_e32 v44, v44                                     // 0000000047F8: 7E58412C
	v_exp_f32_e32 v45, v45                                     // 0000000047FC: 7E5A412D
	v_exp_f32_e32 v46, v46                                     // 000000004800: 7E5C412E
	v_exp_f32_e32 v47, v47                                     // 000000004804: 7E5E412F
	buffer_load_dwordx4 a[60:63], v39, s[12:15], 0 offen       // 000000004808: E05C1000 80833C27
	v_add_f32_e64 v44, v44, 1.0                                // 000000004810: D101002C 0001E52C
	v_add_f32_e64 v45, v45, 1.0                                // 000000004818: D101002D 0001E52D
	v_add_f32_e64 v46, v46, 1.0                                // 000000004820: D101002E 0001E52E
	v_add_f32_e64 v47, v47, 1.0                                // 000000004828: D101002F 0001E52F
	v_rcp_f32_e32 v44, v44                                     // 000000004830: 7E58452C
	v_rcp_f32_e32 v45, v45                                     // 000000004834: 7E5A452D
	v_rcp_f32_e32 v46, v46                                     // 000000004838: 7E5C452E
	v_rcp_f32_e32 v47, v47                                     // 00000000483C: 7E5E452F
	v_mul_f32_e32 v156, v156, v44                              // 000000004840: 0B38599C
	v_mul_f32_e32 v157, v157, v45                              // 000000004844: 0B3A5B9D
	v_mul_f32_e32 v158, v158, v46                              // 000000004848: 0B3C5D9E
	v_mul_f32_e32 v159, v159, v47                              // 00000000484C: 0B3E5F9F
	v_mul_f32_dpp v128, v16, v128 row_newbcast:0 row_mask:0xf bank_mask:0xf// 000000004850: 0B0100FA FF015010
	v_mul_f32_dpp v129, v16, v129 row_newbcast:1 row_mask:0xf bank_mask:0xf// 000000004858: 0B0302FA FF015110
	v_mul_f32_dpp v130, v16, v130 row_newbcast:2 row_mask:0xf bank_mask:0xf// 000000004860: 0B0504FA FF015210
	v_mul_f32_dpp v131, v16, v131 row_newbcast:3 row_mask:0xf bank_mask:0xf// 000000004868: 0B0706FA FF015310
	v_mul_f32_dpp v132, v16, v132 row_newbcast:0 row_mask:0xf bank_mask:0xf// 000000004870: 0B0908FA FF015010
	v_mul_f32_dpp v133, v16, v133 row_newbcast:1 row_mask:0xf bank_mask:0xf// 000000004878: 0B0B0AFA FF015110
	v_mul_f32_dpp v134, v16, v134 row_newbcast:2 row_mask:0xf bank_mask:0xf// 000000004880: 0B0D0CFA FF015210
	v_mul_f32_dpp v135, v16, v135 row_newbcast:3 row_mask:0xf bank_mask:0xf// 000000004888: 0B0F0EFA FF015310
	v_mul_f32_dpp v136, v16, v136 row_newbcast:4 row_mask:0xf bank_mask:0xf// 000000004890: 0B1110FA FF015410
	v_mul_f32_dpp v137, v16, v137 row_newbcast:5 row_mask:0xf bank_mask:0xf// 000000004898: 0B1312FA FF015510
	v_mul_f32_dpp v138, v16, v138 row_newbcast:6 row_mask:0xf bank_mask:0xf// 0000000048A0: 0B1514FA FF015610
	v_mul_f32_dpp v139, v16, v139 row_newbcast:7 row_mask:0xf bank_mask:0xf// 0000000048A8: 0B1716FA FF015710
	v_mul_f32_dpp v140, v16, v140 row_newbcast:4 row_mask:0xf bank_mask:0xf// 0000000048B0: 0B1918FA FF015410
	v_mul_f32_dpp v141, v16, v141 row_newbcast:5 row_mask:0xf bank_mask:0xf// 0000000048B8: 0B1B1AFA FF015510
	v_mul_f32_dpp v142, v16, v142 row_newbcast:6 row_mask:0xf bank_mask:0xf// 0000000048C0: 0B1D1CFA FF015610
	v_mul_f32_dpp v143, v16, v143 row_newbcast:7 row_mask:0xf bank_mask:0xf// 0000000048C8: 0B1F1EFA FF015710
	v_mul_f32_dpp v144, v16, v144 row_newbcast:8 row_mask:0xf bank_mask:0xf// 0000000048D0: 0B2120FA FF015810
	v_mul_f32_dpp v145, v16, v145 row_newbcast:9 row_mask:0xf bank_mask:0xf// 0000000048D8: 0B2322FA FF015910
	v_mul_f32_dpp v146, v16, v146 row_newbcast:10 row_mask:0xf bank_mask:0xf// 0000000048E0: 0B2524FA FF015A10
	v_mul_f32_dpp v147, v16, v147 row_newbcast:11 row_mask:0xf bank_mask:0xf// 0000000048E8: 0B2726FA FF015B10
	v_mul_f32_dpp v148, v16, v148 row_newbcast:8 row_mask:0xf bank_mask:0xf// 0000000048F0: 0B2928FA FF015810
	v_mul_f32_dpp v149, v16, v149 row_newbcast:9 row_mask:0xf bank_mask:0xf// 0000000048F8: 0B2B2AFA FF015910
	v_mul_f32_dpp v150, v16, v150 row_newbcast:10 row_mask:0xf bank_mask:0xf// 000000004900: 0B2D2CFA FF015A10
	v_mul_f32_dpp v151, v16, v151 row_newbcast:11 row_mask:0xf bank_mask:0xf// 000000004908: 0B2F2EFA FF015B10
	v_mul_f32_dpp v152, v16, v152 row_newbcast:12 row_mask:0xf bank_mask:0xf// 000000004910: 0B3130FA FF015C10
	v_mul_f32_dpp v153, v16, v153 row_newbcast:13 row_mask:0xf bank_mask:0xf// 000000004918: 0B3332FA FF015D10
	v_mul_f32_dpp v154, v16, v154 row_newbcast:14 row_mask:0xf bank_mask:0xf// 000000004920: 0B3534FA FF015E10
	v_mul_f32_dpp v155, v16, v155 row_newbcast:15 row_mask:0xf bank_mask:0xf// 000000004928: 0B3736FA FF015F10
	v_mul_f32_dpp v156, v16, v156 row_newbcast:12 row_mask:0xf bank_mask:0xf// 000000004930: 0B3938FA FF015C10
	v_mul_f32_dpp v157, v16, v157 row_newbcast:13 row_mask:0xf bank_mask:0xf// 000000004938: 0B3B3AFA FF015D10
	v_mul_f32_dpp v158, v16, v158 row_newbcast:14 row_mask:0xf bank_mask:0xf// 000000004940: 0B3D3CFA FF015E10
	v_mul_f32_dpp v159, v16, v159 row_newbcast:15 row_mask:0xf bank_mask:0xf// 000000004948: 0B3F3EFA FF015F10
	buffer_load_dword v11, v5, s[16:19], 0 offen               // 000000004950: E0501000 80040B05
	v_mov_b32_e32 v20, 0x358637bd                              // 000000004958: 7E2802FF 358637BD
	v_mov_b32_e32 v21, 0x358637bd                              // 000000004960: 7E2A02FF 358637BD
	v_max3_f32 v20, |v128|, |v129|, v20                        // 000000004968: D1D30314 04530380
	v_max3_f32 v20, |v130|, |v131|, v20                        // 000000004970: D1D30314 04530782
	v_max3_f32 v21, |v132|, |v133|, v21                        // 000000004978: D1D30315 04570B84
	v_max3_f32 v21, |v134|, |v135|, v21                        // 000000004980: D1D30315 04570F86
	v_max3_f32 v20, |v136|, |v137|, v20                        // 000000004988: D1D30314 04531388
	v_max3_f32 v20, |v138|, |v139|, v20                        // 000000004990: D1D30314 0453178A
	v_max3_f32 v21, |v140|, |v141|, v21                        // 000000004998: D1D30315 04571B8C
	v_max3_f32 v21, |v142|, |v143|, v21                        // 0000000049A0: D1D30315 04571F8E
	v_max3_f32 v20, |v144|, |v145|, v20                        // 0000000049A8: D1D30314 04532390
	v_max3_f32 v20, |v146|, |v147|, v20                        // 0000000049B0: D1D30314 04532792
	v_max3_f32 v21, |v148|, |v149|, v21                        // 0000000049B8: D1D30315 04572B94
	v_max3_f32 v21, |v150|, |v151|, v21                        // 0000000049C0: D1D30315 04572F96
	v_max3_f32 v20, |v152|, |v153|, v20                        // 0000000049C8: D1D30314 04533398
	v_max3_f32 v20, |v154|, |v155|, v20                        // 0000000049D0: D1D30314 0453379A
	v_max3_f32 v21, |v156|, |v157|, v21                        // 0000000049D8: D1D30315 04573B9C
	v_max3_f32 v21, |v158|, |v159|, v21                        // 0000000049E0: D1D30315 04573F9E
	v_lshlrev_b32_e32 v44, 3, v0                               // 0000000049E8: 24580083
	s_mul_i32 s60, 0x200, s7                                   // 0000000049EC: 923C07FF 00000200
	v_add_u32_e32 v44, s60, v44                                // 0000000049F4: 6858583C
	ds_write_b64 v44, v[20:21] offset:16640                    // 0000000049F8: D89A4100 0000142C
	s_waitcnt lgkmcnt(0)                                       // 000000004A00: BF8CC07F
	s_barrier                                                  // 000000004A04: BF8A0000
	v_and_b32_e32 v44, 15, v0                                  // 000000004A08: 2658008F
	v_lshlrev_b32_e32 v44, 3, v44                              // 000000004A0C: 24585883
	ds_read_b64 v[96:97], v44 offset:16640                     // 000000004A10: D8EC4100 6000002C
	ds_read_b64 v[98:99], v44 offset:16768                     // 000000004A18: D8EC4180 6200002C
	ds_read_b64 v[100:101], v44 offset:16896                   // 000000004A20: D8EC4200 6400002C
	ds_read_b64 v[102:103], v44 offset:17024                   // 000000004A28: D8EC4280 6600002C
	ds_read_b64 v[104:105], v44 offset:17152                   // 000000004A30: D8EC4300 6800002C
	ds_read_b64 v[106:107], v44 offset:17280                   // 000000004A38: D8EC4380 6A00002C
	ds_read_b64 v[108:109], v44 offset:17408                   // 000000004A40: D8EC4400 6C00002C
	ds_read_b64 v[110:111], v44 offset:17536                   // 000000004A48: D8EC4480 6E00002C
	ds_read_b64 v[112:113], v44 offset:17664                   // 000000004A50: D8EC4500 7000002C
	ds_read_b64 v[114:115], v44 offset:17792                   // 000000004A58: D8EC4580 7200002C
	ds_read_b64 v[116:117], v44 offset:17920                   // 000000004A60: D8EC4600 7400002C
	ds_read_b64 v[118:119], v44 offset:18048                   // 000000004A68: D8EC4680 7600002C
	ds_read_b64 v[120:121], v44 offset:18176                   // 000000004A70: D8EC4700 7800002C
	ds_read_b64 v[122:123], v44 offset:18304                   // 000000004A78: D8EC4780 7A00002C
	ds_read_b64 v[124:125], v44 offset:18432                   // 000000004A80: D8EC4800 7C00002C
	ds_read_b64 v[126:127], v44 offset:18560                   // 000000004A88: D8EC4880 7E00002C
	s_waitcnt lgkmcnt(0)                                       // 000000004A90: BF8CC07F
	v_max3_f32 v20, |v96|, |v98|, v20                          // 000000004A94: D1D30314 0452C560
	v_max3_f32 v21, |v97|, |v99|, v21                          // 000000004A9C: D1D30315 0456C761
	v_max3_f32 v20, |v100|, |v102|, v20                        // 000000004AA4: D1D30314 0452CD64
	v_max3_f32 v21, |v101|, |v103|, v21                        // 000000004AAC: D1D30315 0456CF65
	v_max3_f32 v20, |v104|, |v106|, v20                        // 000000004AB4: D1D30314 0452D568
	v_max3_f32 v21, |v105|, |v107|, v21                        // 000000004ABC: D1D30315 0456D769
	v_max3_f32 v20, |v108|, |v110|, v20                        // 000000004AC4: D1D30314 0452DD6C
	v_max3_f32 v21, |v109|, |v111|, v21                        // 000000004ACC: D1D30315 0456DF6D
	v_max3_f32 v20, |v112|, |v114|, v20                        // 000000004AD4: D1D30314 0452E570
	v_max3_f32 v21, |v113|, |v115|, v21                        // 000000004ADC: D1D30315 0456E771
	v_max3_f32 v20, |v116|, |v118|, v20                        // 000000004AE4: D1D30314 0452ED74
	v_max3_f32 v21, |v117|, |v119|, v21                        // 000000004AEC: D1D30315 0456EF75
	v_max3_f32 v20, |v120|, |v122|, v20                        // 000000004AF4: D1D30314 0452F578
	v_max3_f32 v21, |v121|, |v123|, v21                        // 000000004AFC: D1D30315 0456F779
	v_max3_f32 v20, |v124|, |v126|, v20                        // 000000004B04: D1D30314 0452FD7C
	v_max3_f32 v21, |v125|, |v127|, v21                        // 000000004B0C: D1D30315 0456FF7D
	v_rcp_f32_e32 v20, v20                                     // 000000004B14: 7E284514
	v_rcp_f32_e32 v21, v21                                     // 000000004B18: 7E2A4515
	v_mul_f32_e32 v20, 0x42fe0000, v20                         // 000000004B1C: 0A2828FF 42FE0000
	v_mul_f32_e32 v21, 0x42fe0000, v21                         // 000000004B24: 0A2A2AFF 42FE0000
	v_mul_f32_e32 v128, v20, v128                              // 000000004B2C: 0B010114
	v_mul_f32_e32 v129, v20, v129                              // 000000004B30: 0B030314
	v_mul_f32_e32 v130, v20, v130                              // 000000004B34: 0B050514
	v_mul_f32_e32 v131, v20, v131                              // 000000004B38: 0B070714
	v_cvt_i32_f32_e32 v128, v128                               // 000000004B3C: 7F001180
	v_cvt_i32_f32_e32 v129, v129                               // 000000004B40: 7F021181
	v_cvt_i32_f32_e32 v130, v130                               // 000000004B44: 7F041182
	v_cvt_i32_f32_e32 v131, v131                               // 000000004B48: 7F061183
	v_perm_b32 v128, v129, v128, s53                           // 000000004B4C: D1ED0080 00D70181
	v_perm_b32 v128, v130, v128, s54                           // 000000004B54: D1ED0080 00DB0182
	v_perm_b32 v128, v131, v128, s55                           // 000000004B5C: D1ED0080 00DF0183
	v_mul_f32_e32 v132, v21, v132                              // 000000004B64: 0B090915
	v_mul_f32_e32 v133, v21, v133                              // 000000004B68: 0B0B0B15
	v_mul_f32_e32 v134, v21, v134                              // 000000004B6C: 0B0D0D15
	v_mul_f32_e32 v135, v21, v135                              // 000000004B70: 0B0F0F15
	v_cvt_i32_f32_e32 v132, v132                               // 000000004B74: 7F081184
	v_cvt_i32_f32_e32 v133, v133                               // 000000004B78: 7F0A1185
	v_cvt_i32_f32_e32 v134, v134                               // 000000004B7C: 7F0C1186
	v_cvt_i32_f32_e32 v135, v135                               // 000000004B80: 7F0E1187
	v_perm_b32 v129, v133, v132, s53                           // 000000004B84: D1ED0081 00D70985
	v_perm_b32 v129, v134, v129, s54                           // 000000004B8C: D1ED0081 00DB0386
	v_perm_b32 v129, v135, v129, s55                           // 000000004B94: D1ED0081 00DF0387
	v_mul_f32_e32 v136, v20, v136                              // 000000004B9C: 0B111114
	v_mul_f32_e32 v137, v20, v137                              // 000000004BA0: 0B131314
	v_mul_f32_e32 v138, v20, v138                              // 000000004BA4: 0B151514
	v_mul_f32_e32 v139, v20, v139                              // 000000004BA8: 0B171714
	v_cvt_i32_f32_e32 v136, v136                               // 000000004BAC: 7F101188
	v_cvt_i32_f32_e32 v137, v137                               // 000000004BB0: 7F121189
	v_cvt_i32_f32_e32 v138, v138                               // 000000004BB4: 7F14118A
	v_cvt_i32_f32_e32 v139, v139                               // 000000004BB8: 7F16118B
	v_perm_b32 v130, v137, v136, s53                           // 000000004BBC: D1ED0082 00D71189
	v_perm_b32 v130, v138, v130, s54                           // 000000004BC4: D1ED0082 00DB058A
	v_perm_b32 v130, v139, v130, s55                           // 000000004BCC: D1ED0082 00DF058B
	v_mul_f32_e32 v140, v21, v140                              // 000000004BD4: 0B191915
	v_mul_f32_e32 v141, v21, v141                              // 000000004BD8: 0B1B1B15
	v_mul_f32_e32 v142, v21, v142                              // 000000004BDC: 0B1D1D15
	v_mul_f32_e32 v143, v21, v143                              // 000000004BE0: 0B1F1F15
	v_cvt_i32_f32_e32 v140, v140                               // 000000004BE4: 7F18118C
	v_cvt_i32_f32_e32 v141, v141                               // 000000004BE8: 7F1A118D
	v_cvt_i32_f32_e32 v142, v142                               // 000000004BEC: 7F1C118E
	v_cvt_i32_f32_e32 v143, v143                               // 000000004BF0: 7F1E118F
	v_perm_b32 v131, v141, v140, s53                           // 000000004BF4: D1ED0083 00D7198D
	v_perm_b32 v131, v142, v131, s54                           // 000000004BFC: D1ED0083 00DB078E
	v_perm_b32 v131, v143, v131, s55                           // 000000004C04: D1ED0083 00DF078F
	v_mul_f32_e32 v144, v20, v144                              // 000000004C0C: 0B212114
	v_mul_f32_e32 v145, v20, v145                              // 000000004C10: 0B232314
	v_mul_f32_e32 v146, v20, v146                              // 000000004C14: 0B252514
	v_mul_f32_e32 v147, v20, v147                              // 000000004C18: 0B272714
	v_cvt_i32_f32_e32 v144, v144                               // 000000004C1C: 7F201190
	v_cvt_i32_f32_e32 v145, v145                               // 000000004C20: 7F221191
	v_cvt_i32_f32_e32 v146, v146                               // 000000004C24: 7F241192
	v_cvt_i32_f32_e32 v147, v147                               // 000000004C28: 7F261193
	v_perm_b32 v132, v145, v144, s53                           // 000000004C2C: D1ED0084 00D72191
	v_perm_b32 v132, v146, v132, s54                           // 000000004C34: D1ED0084 00DB0992
	v_perm_b32 v132, v147, v132, s55                           // 000000004C3C: D1ED0084 00DF0993
	v_mul_f32_e32 v148, v21, v148                              // 000000004C44: 0B292915
	v_mul_f32_e32 v149, v21, v149                              // 000000004C48: 0B2B2B15
	v_mul_f32_e32 v150, v21, v150                              // 000000004C4C: 0B2D2D15
	v_mul_f32_e32 v151, v21, v151                              // 000000004C50: 0B2F2F15
	v_cvt_i32_f32_e32 v148, v148                               // 000000004C54: 7F281194
	v_cvt_i32_f32_e32 v149, v149                               // 000000004C58: 7F2A1195
	v_cvt_i32_f32_e32 v150, v150                               // 000000004C5C: 7F2C1196
	v_cvt_i32_f32_e32 v151, v151                               // 000000004C60: 7F2E1197
	v_perm_b32 v133, v149, v148, s53                           // 000000004C64: D1ED0085 00D72995
	v_perm_b32 v133, v150, v133, s54                           // 000000004C6C: D1ED0085 00DB0B96
	v_perm_b32 v133, v151, v133, s55                           // 000000004C74: D1ED0085 00DF0B97
	v_mul_f32_e32 v152, v20, v152                              // 000000004C7C: 0B313114
	v_mul_f32_e32 v153, v20, v153                              // 000000004C80: 0B333314
	v_mul_f32_e32 v154, v20, v154                              // 000000004C84: 0B353514
	v_mul_f32_e32 v155, v20, v155                              // 000000004C88: 0B373714
	v_cvt_i32_f32_e32 v152, v152                               // 000000004C8C: 7F301198
	v_cvt_i32_f32_e32 v153, v153                               // 000000004C90: 7F321199
	v_cvt_i32_f32_e32 v154, v154                               // 000000004C94: 7F34119A
	v_cvt_i32_f32_e32 v155, v155                               // 000000004C98: 7F36119B
	v_perm_b32 v134, v153, v152, s53                           // 000000004C9C: D1ED0086 00D73199
	v_perm_b32 v134, v154, v134, s54                           // 000000004CA4: D1ED0086 00DB0D9A
	v_perm_b32 v134, v155, v134, s55                           // 000000004CAC: D1ED0086 00DF0D9B
	v_mul_f32_e32 v156, v21, v156                              // 000000004CB4: 0B393915
	v_mul_f32_e32 v157, v21, v157                              // 000000004CB8: 0B3B3B15
	v_mul_f32_e32 v158, v21, v158                              // 000000004CBC: 0B3D3D15
	v_mul_f32_e32 v159, v21, v159                              // 000000004CC0: 0B3F3F15
	v_cvt_i32_f32_e32 v156, v156                               // 000000004CC4: 7F38119C
	v_cvt_i32_f32_e32 v157, v157                               // 000000004CC8: 7F3A119D
	v_cvt_i32_f32_e32 v158, v158                               // 000000004CCC: 7F3C119E
	v_cvt_i32_f32_e32 v159, v159                               // 000000004CD0: 7F3E119F
	v_perm_b32 v135, v157, v156, s53                           // 000000004CD4: D1ED0087 00D7399D
	v_perm_b32 v135, v158, v135, s54                           // 000000004CDC: D1ED0087 00DB0F9E
	v_perm_b32 v135, v159, v135, s55                           // 000000004CE4: D1ED0087 00DF0F9F
	v_rcp_f32_e32 v22, v20                                     // 000000004CEC: 7E2C4514
	v_rcp_f32_e32 v23, v21                                     // 000000004CF0: 7E2E4515
	v_lshrrev_b32_e32 v44, 5, v0                               // 000000004CF4: 20580085
	v_lshlrev_b32_e32 v45, 5, v44                              // 000000004CF8: 245A5885
	v_and_b32_e32 v44, 31, v0                                  // 000000004CFC: 2658009F
	v_lshrrev_b32_e32 v46, 4, v44                              // 000000004D00: 205C5884
	v_add_u32_e32 v45, v46, v45                                // 000000004D04: 685A5B2E
	v_and_b32_e32 v44, 15, v0                                  // 000000004D08: 2658008F
	v_lshlrev_b32_e32 v44, 1, v44                              // 000000004D0C: 24585881
	v_add_u32_e32 v45, v44, v45                                // 000000004D10: 685A5B2C
	v_lshlrev_b32_e32 v44, 2, v45                              // 000000004D14: 24585A82
	s_mul_i32 s60, 0x100, s7                                   // 000000004D18: 923C07FF 00000100
	v_add_u32_e64 v44, v44, s60                                // 000000004D20: D134002C 0000792C
	ds_write_b32 v44, v128 offset:18688                        // 000000004D28: D81A4900 0000802C
	ds_write_b32 v44, v129 offset:22784                        // 000000004D30: D81A5900 0000812C
	ds_write_b32 v44, v130 offset:19712                        // 000000004D38: D81A4D00 0000822C
	ds_write_b32 v44, v131 offset:23808                        // 000000004D40: D81A5D00 0000832C
	ds_write_b32 v44, v132 offset:20736                        // 000000004D48: D81A5100 0000842C
	ds_write_b32 v44, v133 offset:24832                        // 000000004D50: D81A6100 0000852C
	ds_write_b32 v44, v134 offset:21760                        // 000000004D58: D81A5500 0000862C
	ds_write_b32 v44, v135 offset:25856                        // 000000004D60: D81A6500 0000872C
	s_waitcnt lgkmcnt(0)                                       // 000000004D68: BF8CC07F
	s_barrier                                                  // 000000004D6C: BF8A0000
	v_lshrrev_b32_e32 v44, 4, v0                               // 000000004D70: 20580084
	v_lshlrev_b32_e32 v45, 6, v44                              // 000000004D74: 245A5886
	v_and_b32_e32 v44, 15, v0                                  // 000000004D78: 2658008F
	v_lshlrev_b32_e32 v44, 1, v44                              // 000000004D7C: 24585881
	v_add_u32_e32 v45, v44, v45                                // 000000004D80: 685A5B2C
	v_lshlrev_b32_e32 v44, 2, v45                              // 000000004D84: 24585A82
	ds_read_b64 v[128:129], v44 offset:18688                   // 000000004D88: D8EC4900 8000002C
	ds_read_b64 v[130:131], v44 offset:18816                   // 000000004D90: D8EC4980 8200002C
	ds_read_b64 v[132:133], v44 offset:19712                   // 000000004D98: D8EC4D00 8400002C
	ds_read_b64 v[134:135], v44 offset:19840                   // 000000004DA0: D8EC4D80 8600002C
	ds_read_b64 v[136:137], v44 offset:20736                   // 000000004DA8: D8EC5100 8800002C
	ds_read_b64 v[138:139], v44 offset:20864                   // 000000004DB0: D8EC5180 8A00002C
	ds_read_b64 v[140:141], v44 offset:21760                   // 000000004DB8: D8EC5500 8C00002C
	ds_read_b64 v[142:143], v44 offset:21888                   // 000000004DC0: D8EC5580 8E00002C
	ds_read_b64 v[144:145], v44 offset:22784                   // 000000004DC8: D8EC5900 9000002C
	ds_read_b64 v[146:147], v44 offset:22912                   // 000000004DD0: D8EC5980 9200002C
	ds_read_b64 v[148:149], v44 offset:23808                   // 000000004DD8: D8EC5D00 9400002C
	ds_read_b64 v[150:151], v44 offset:23936                   // 000000004DE0: D8EC5D80 9600002C
	ds_read_b64 v[152:153], v44 offset:24832                   // 000000004DE8: D8EC6100 9800002C
	ds_read_b64 v[154:155], v44 offset:24960                   // 000000004DF0: D8EC6180 9A00002C
	ds_read_b64 v[156:157], v44 offset:25856                   // 000000004DF8: D8EC6500 9C00002C
	ds_read_b64 v[158:159], v44 offset:25984                   // 000000004E00: D8EC6580 9E00002C
	s_add_u32 s12, s56, s12                                    // 000000004E08: 800C0C38
	s_addc_u32 s13, 0, s13                                     // 000000004E0C: 820D0D80
	s_add_u32 s16, s79, s16                                    // 000000004E10: 8010104F
	s_addc_u32 s17, 0, s17                                     // 000000004E14: 82111180
	s_mov_b32 s80, 0                                           // 000000004E18: BED00080
	s_waitcnt vmcnt(0) expcnt(0) lgkmcnt(0)                    // 000000004E1C: BF8C0000

0000000000004e20 <label_0808>:
	s_waitcnt vmcnt(29)                                        // 000000004E20: BF8C4F7D
	s_barrier                                                  // 000000004E24: BF8A0000
	v_mfma_i32_16x16x32_i8 v[160:163], a[0:1], v[128:129], 0   // 000000004E28: D3D700A0 0A030100
	v_mfma_i32_16x16x32_i8 v[160:163], a[2:3], v[130:131], v[160:163]// 000000004E30: D3D700A0 0E830502
	buffer_load_dwordx4 a[64:67], v36, s[12:15], 0 offen       // 000000004E38: E05C1000 80834024
	v_mfma_i32_16x16x32_i8 v[164:167], a[0:1], v[144:145], 0   // 000000004E40: D3D700A4 0A032100
	v_mfma_i32_16x16x32_i8 v[164:167], a[2:3], v[146:147], v[164:167]// 000000004E48: D3D700A4 0E932502
	v_mfma_i32_16x16x32_i8 v[168:171], a[4:5], v[128:129], 0   // 000000004E50: D3D700A8 0A030104
	v_mfma_i32_16x16x32_i8 v[168:171], a[6:7], v[130:131], v[168:171]// 000000004E58: D3D700A8 0EA30506
	buffer_load_dwordx4 a[68:71], v37, s[12:15], 0 offen       // 000000004E60: E05C1000 80834425
	v_mfma_i32_16x16x32_i8 v[172:175], a[4:5], v[144:145], 0   // 000000004E68: D3D700AC 0A032104
	v_mfma_i32_16x16x32_i8 v[172:175], a[6:7], v[146:147], v[172:175]// 000000004E70: D3D700AC 0EB32506
	v_mfma_i32_16x16x32_i8 v[176:179], a[8:9], v[128:129], 0   // 000000004E78: D3D700B0 0A030108
	v_mfma_i32_16x16x32_i8 v[176:179], a[10:11], v[130:131], v[176:179]// 000000004E80: D3D700B0 0EC3050A
	buffer_load_dwordx4 a[72:75], v38, s[12:15], 0 offen       // 000000004E88: E05C1000 80834826
	v_mfma_i32_16x16x32_i8 v[180:183], a[8:9], v[144:145], 0   // 000000004E90: D3D700B4 0A032108
	v_mfma_i32_16x16x32_i8 v[180:183], a[10:11], v[146:147], v[180:183]// 000000004E98: D3D700B4 0ED3250A
	v_mfma_i32_16x16x32_i8 v[184:187], a[12:13], v[128:129], 0 // 000000004EA0: D3D700B8 0A03010C
	v_mfma_i32_16x16x32_i8 v[184:187], a[14:15], v[130:131], v[184:187]// 000000004EA8: D3D700B8 0EE3050E
	buffer_load_dwordx4 a[76:79], v39, s[12:15], 0 offen       // 000000004EB0: E05C1000 80834C27
	s_add_u32 s12, s78, s12                                    // 000000004EB8: 800C0C4E
	s_addc_u32 s13, 0, s13                                     // 000000004EBC: 820D0D80
	v_mfma_i32_16x16x32_i8 v[188:191], a[12:13], v[144:145], 0 // 000000004EC0: D3D700BC 0A03210C
	v_mfma_i32_16x16x32_i8 v[188:191], a[14:15], v[146:147], v[188:191]// 000000004EC8: D3D700BC 0EF3250E
	s_waitcnt vmcnt(29)                                        // 000000004ED0: BF8C4F7D
	v_mfma_i32_16x16x32_i8 v[160:163], a[16:17], v[132:133], v[160:163]// 000000004ED4: D3D700A0 0E830910
	v_mfma_i32_16x16x32_i8 v[160:163], a[18:19], v[134:135], v[160:163]// 000000004EDC: D3D700A0 0E830D12
	buffer_load_dwordx4 a[80:83], v36, s[12:15], 0 offen       // 000000004EE4: E05C1000 80835024
	v_mfma_i32_16x16x32_i8 v[164:167], a[16:17], v[148:149], v[164:167]// 000000004EEC: D3D700A4 0E932910
	v_mfma_i32_16x16x32_i8 v[164:167], a[18:19], v[150:151], v[164:167]// 000000004EF4: D3D700A4 0E932D12
	v_mfma_i32_16x16x32_i8 v[168:171], a[20:21], v[132:133], v[168:171]// 000000004EFC: D3D700A8 0EA30914
	v_mfma_i32_16x16x32_i8 v[168:171], a[22:23], v[134:135], v[168:171]// 000000004F04: D3D700A8 0EA30D16
	buffer_load_dwordx4 a[84:87], v37, s[12:15], 0 offen       // 000000004F0C: E05C1000 80835425
	v_mfma_i32_16x16x32_i8 v[172:175], a[20:21], v[148:149], v[172:175]// 000000004F14: D3D700AC 0EB32914
	v_mfma_i32_16x16x32_i8 v[172:175], a[22:23], v[150:151], v[172:175]// 000000004F1C: D3D700AC 0EB32D16
	v_mfma_i32_16x16x32_i8 v[176:179], a[24:25], v[132:133], v[176:179]// 000000004F24: D3D700B0 0EC30918
	v_mfma_i32_16x16x32_i8 v[176:179], a[26:27], v[134:135], v[176:179]// 000000004F2C: D3D700B0 0EC30D1A
	buffer_load_dwordx4 a[88:91], v38, s[12:15], 0 offen       // 000000004F34: E05C1000 80835826
	v_mfma_i32_16x16x32_i8 v[180:183], a[24:25], v[148:149], v[180:183]// 000000004F3C: D3D700B4 0ED32918
	v_mfma_i32_16x16x32_i8 v[180:183], a[26:27], v[150:151], v[180:183]// 000000004F44: D3D700B4 0ED32D1A
	v_mfma_i32_16x16x32_i8 v[184:187], a[28:29], v[132:133], v[184:187]// 000000004F4C: D3D700B8 0EE3091C
	v_mfma_i32_16x16x32_i8 v[184:187], a[30:31], v[134:135], v[184:187]// 000000004F54: D3D700B8 0EE30D1E
	buffer_load_dwordx4 a[92:95], v39, s[12:15], 0 offen       // 000000004F5C: E05C1000 80835C27
	s_add_u32 s12, s78, s12                                    // 000000004F64: 800C0C4E
	s_addc_u32 s13, 0, s13                                     // 000000004F68: 820D0D80
	v_mfma_i32_16x16x32_i8 v[188:191], a[28:29], v[148:149], v[188:191]// 000000004F6C: D3D700BC 0EF3291C
	v_mfma_i32_16x16x32_i8 v[188:191], a[30:31], v[150:151], v[188:191]// 000000004F74: D3D700BC 0EF32D1E
	s_waitcnt vmcnt(29)                                        // 000000004F7C: BF8C4F7D
	v_mfma_i32_16x16x32_i8 v[160:163], a[32:33], v[136:137], v[160:163]// 000000004F80: D3D700A0 0E831120
	v_mfma_i32_16x16x32_i8 v[160:163], a[34:35], v[138:139], v[160:163]// 000000004F88: D3D700A0 0E831522
	buffer_load_dwordx4 a[96:99], v36, s[12:15], 0 offen       // 000000004F90: E05C1000 80836024
	v_mfma_i32_16x16x32_i8 v[164:167], a[32:33], v[152:153], v[164:167]// 000000004F98: D3D700A4 0E933120
	v_mfma_i32_16x16x32_i8 v[164:167], a[34:35], v[154:155], v[164:167]// 000000004FA0: D3D700A4 0E933522
	v_mfma_i32_16x16x32_i8 v[168:171], a[36:37], v[136:137], v[168:171]// 000000004FA8: D3D700A8 0EA31124
	v_mfma_i32_16x16x32_i8 v[168:171], a[38:39], v[138:139], v[168:171]// 000000004FB0: D3D700A8 0EA31526
	buffer_load_dwordx4 a[100:103], v37, s[12:15], 0 offen     // 000000004FB8: E05C1000 80836425
	v_mfma_i32_16x16x32_i8 v[172:175], a[36:37], v[152:153], v[172:175]// 000000004FC0: D3D700AC 0EB33124
	v_mfma_i32_16x16x32_i8 v[172:175], a[38:39], v[154:155], v[172:175]// 000000004FC8: D3D700AC 0EB33526
	v_mfma_i32_16x16x32_i8 v[176:179], a[40:41], v[136:137], v[176:179]// 000000004FD0: D3D700B0 0EC31128
	v_mfma_i32_16x16x32_i8 v[176:179], a[42:43], v[138:139], v[176:179]// 000000004FD8: D3D700B0 0EC3152A
	buffer_load_dwordx4 a[104:107], v38, s[12:15], 0 offen     // 000000004FE0: E05C1000 80836826
	v_mfma_i32_16x16x32_i8 v[180:183], a[40:41], v[152:153], v[180:183]// 000000004FE8: D3D700B4 0ED33128
	v_mfma_i32_16x16x32_i8 v[180:183], a[42:43], v[154:155], v[180:183]// 000000004FF0: D3D700B4 0ED3352A
	v_mfma_i32_16x16x32_i8 v[184:187], a[44:45], v[136:137], v[184:187]// 000000004FF8: D3D700B8 0EE3112C
	v_mfma_i32_16x16x32_i8 v[184:187], a[46:47], v[138:139], v[184:187]// 000000005000: D3D700B8 0EE3152E
	buffer_load_dwordx4 a[108:111], v39, s[12:15], 0 offen     // 000000005008: E05C1000 80836C27
	s_add_u32 s12, s78, s12                                    // 000000005010: 800C0C4E
	s_addc_u32 s13, 0, s13                                     // 000000005014: 820D0D80
	v_mfma_i32_16x16x32_i8 v[188:191], a[44:45], v[152:153], v[188:191]// 000000005018: D3D700BC 0EF3312C
	v_mfma_i32_16x16x32_i8 v[188:191], a[46:47], v[154:155], v[188:191]// 000000005020: D3D700BC 0EF3352E
	s_waitcnt vmcnt(28)                                        // 000000005028: BF8C4F7C
	v_mfma_i32_16x16x32_i8 v[160:163], a[48:49], v[140:141], v[160:163]// 00000000502C: D3D700A0 0E831930
	v_mfma_i32_16x16x32_i8 v[160:163], a[50:51], v[142:143], v[160:163]// 000000005034: D3D700A0 0E831D32
	buffer_load_dwordx4 a[112:115], v36, s[12:15], 0 offen     // 00000000503C: E05C1000 80837024
	v_mfma_i32_16x16x32_i8 v[164:167], a[48:49], v[156:157], v[164:167]// 000000005044: D3D700A4 0E933930
	v_mfma_i32_16x16x32_i8 v[164:167], a[50:51], v[158:159], v[164:167]// 00000000504C: D3D700A4 0E933D32
	buffer_load_dword v12, v5, s[16:19], 0 offen               // 000000005054: E0501000 80040C05
	v_mfma_i32_16x16x32_i8 v[168:171], a[52:53], v[140:141], v[168:171]// 00000000505C: D3D700A8 0EA31934
	v_mfma_i32_16x16x32_i8 v[168:171], a[54:55], v[142:143], v[168:171]// 000000005064: D3D700A8 0EA31D36
	buffer_load_dwordx4 a[116:119], v37, s[12:15], 0 offen     // 00000000506C: E05C1000 80837425
	v_mfma_i32_16x16x32_i8 v[172:175], a[52:53], v[156:157], v[172:175]// 000000005074: D3D700AC 0EB33934
	v_mfma_i32_16x16x32_i8 v[172:175], a[54:55], v[158:159], v[172:175]// 00000000507C: D3D700AC 0EB33D36
	v_mfma_i32_16x16x32_i8 v[176:179], a[56:57], v[140:141], v[176:179]// 000000005084: D3D700B0 0EC31938
	v_mfma_i32_16x16x32_i8 v[176:179], a[58:59], v[142:143], v[176:179]// 00000000508C: D3D700B0 0EC31D3A
	buffer_load_dwordx4 a[120:123], v38, s[12:15], 0 offen     // 000000005094: E05C1000 80837826
	v_mfma_i32_16x16x32_i8 v[180:183], a[56:57], v[156:157], v[180:183]// 00000000509C: D3D700B4 0ED33938
	v_mfma_i32_16x16x32_i8 v[180:183], a[58:59], v[158:159], v[180:183]// 0000000050A4: D3D700B4 0ED33D3A
	v_mfma_i32_16x16x32_i8 v[184:187], a[60:61], v[140:141], v[184:187]// 0000000050AC: D3D700B8 0EE3193C
	v_mfma_i32_16x16x32_i8 v[184:187], a[62:63], v[142:143], v[184:187]// 0000000050B4: D3D700B8 0EE31D3E
	buffer_load_dwordx4 a[124:127], v39, s[12:15], 0 offen     // 0000000050BC: E05C1000 80837C27
	v_mfma_i32_16x16x32_i8 v[188:191], a[60:61], v[156:157], v[188:191]// 0000000050C4: D3D700BC 0EF3393C
	v_mfma_i32_16x16x32_i8 v[188:191], a[62:63], v[158:159], v[188:191]// 0000000050CC: D3D700BC 0EF33D3E
	s_add_u32 s60, 0x200, s80                                  // 0000000050D4: 803C50FF 00000200
	s_cmp_lt_u32 s60, s81                                      // 0000000050DC: BF0A513C
	s_cselect_b32 s56, s56, 0                                  // 0000000050E0: 85388038
	s_cselect_b32 s78, s78, 0                                  // 0000000050E4: 854E804E
	s_cselect_b32 s79, s79, 0                                  // 0000000050E8: 854F804F
	s_add_u32 s12, s56, s12                                    // 0000000050EC: 800C0C38
	s_addc_u32 s13, 0, s13                                     // 0000000050F0: 820D0D80
	s_add_u32 s16, s79, s16                                    // 0000000050F4: 8010104F
	s_addc_u32 s17, 0, s17                                     // 0000000050F8: 82111180
	v_cvt_f32_i32_e32 v160, v160                               // 0000000050FC: 7F400BA0
	v_cvt_f32_i32_e32 v161, v161                               // 000000005100: 7F420BA1
	v_cvt_f32_i32_e32 v162, v162                               // 000000005104: 7F440BA2
	v_cvt_f32_i32_e32 v163, v163                               // 000000005108: 7F460BA3
	v_mul_f32_e32 v160, v22, v160                              // 00000000510C: 0B414116
	v_mul_f32_e32 v161, v22, v161                              // 000000005110: 0B434316
	v_mul_f32_e32 v162, v22, v162                              // 000000005114: 0B454516
	v_mul_f32_e32 v163, v22, v163                              // 000000005118: 0B474716
	v_mul_f32_dpp v160, v11, v160 row_newbcast:0 row_mask:0xf bank_mask:0xf// 00000000511C: 0B4140FA FF01500B
	v_mul_f32_dpp v161, v11, v161 row_newbcast:1 row_mask:0xf bank_mask:0xf// 000000005124: 0B4342FA FF01510B
	v_mul_f32_dpp v162, v11, v162 row_newbcast:2 row_mask:0xf bank_mask:0xf// 00000000512C: 0B4544FA FF01520B
	v_mul_f32_dpp v163, v11, v163 row_newbcast:3 row_mask:0xf bank_mask:0xf// 000000005134: 0B4746FA FF01530B
	v_mul_f32_e32 v160, v17, v160                              // 00000000513C: 0B414111
	v_mul_f32_e32 v161, v17, v161                              // 000000005140: 0B434311
	v_mul_f32_e32 v162, v17, v162                              // 000000005144: 0B454511
	v_mul_f32_e32 v163, v17, v163                              // 000000005148: 0B474711
	v_cvt_f32_i32_e32 v164, v164                               // 00000000514C: 7F480BA4
	v_cvt_f32_i32_e32 v165, v165                               // 000000005150: 7F4A0BA5
	v_cvt_f32_i32_e32 v166, v166                               // 000000005154: 7F4C0BA6
	v_cvt_f32_i32_e32 v167, v167                               // 000000005158: 7F4E0BA7
	v_mul_f32_e32 v164, v23, v164                              // 00000000515C: 0B494917
	v_mul_f32_e32 v165, v23, v165                              // 000000005160: 0B4B4B17
	v_mul_f32_e32 v166, v23, v166                              // 000000005164: 0B4D4D17
	v_mul_f32_e32 v167, v23, v167                              // 000000005168: 0B4F4F17
	v_mul_f32_dpp v164, v11, v164 row_newbcast:0 row_mask:0xf bank_mask:0xf// 00000000516C: 0B4948FA FF01500B
	v_mul_f32_dpp v165, v11, v165 row_newbcast:1 row_mask:0xf bank_mask:0xf// 000000005174: 0B4B4AFA FF01510B
	v_mul_f32_dpp v166, v11, v166 row_newbcast:2 row_mask:0xf bank_mask:0xf// 00000000517C: 0B4D4CFA FF01520B
	v_mul_f32_dpp v167, v11, v167 row_newbcast:3 row_mask:0xf bank_mask:0xf// 000000005184: 0B4F4EFA FF01530B
	v_mul_f32_e32 v164, v18, v164                              // 00000000518C: 0B494912
	v_mul_f32_e32 v165, v18, v165                              // 000000005190: 0B4B4B12
	v_mul_f32_e32 v166, v18, v166                              // 000000005194: 0B4D4D12
	v_mul_f32_e32 v167, v18, v167                              // 000000005198: 0B4F4F12
	v_cvt_f32_i32_e32 v168, v168                               // 00000000519C: 7F500BA8
	v_cvt_f32_i32_e32 v169, v169                               // 0000000051A0: 7F520BA9
	v_cvt_f32_i32_e32 v170, v170                               // 0000000051A4: 7F540BAA
	v_cvt_f32_i32_e32 v171, v171                               // 0000000051A8: 7F560BAB
	v_mul_f32_e32 v168, v22, v168                              // 0000000051AC: 0B515116
	v_mul_f32_e32 v169, v22, v169                              // 0000000051B0: 0B535316
	v_mul_f32_e32 v170, v22, v170                              // 0000000051B4: 0B555516
	v_mul_f32_e32 v171, v22, v171                              // 0000000051B8: 0B575716
	v_mul_f32_dpp v168, v11, v168 row_newbcast:4 row_mask:0xf bank_mask:0xf// 0000000051BC: 0B5150FA FF01540B
	v_mul_f32_dpp v169, v11, v169 row_newbcast:5 row_mask:0xf bank_mask:0xf// 0000000051C4: 0B5352FA FF01550B
	v_mul_f32_dpp v170, v11, v170 row_newbcast:6 row_mask:0xf bank_mask:0xf// 0000000051CC: 0B5554FA FF01560B
	v_mul_f32_dpp v171, v11, v171 row_newbcast:7 row_mask:0xf bank_mask:0xf// 0000000051D4: 0B5756FA FF01570B
	v_mul_f32_e32 v168, v17, v168                              // 0000000051DC: 0B515111
	v_mul_f32_e32 v169, v17, v169                              // 0000000051E0: 0B535311
	v_mul_f32_e32 v170, v17, v170                              // 0000000051E4: 0B555511
	v_mul_f32_e32 v171, v17, v171                              // 0000000051E8: 0B575711
	v_cvt_f32_i32_e32 v172, v172                               // 0000000051EC: 7F580BAC
	v_cvt_f32_i32_e32 v173, v173                               // 0000000051F0: 7F5A0BAD
	v_cvt_f32_i32_e32 v174, v174                               // 0000000051F4: 7F5C0BAE
	v_cvt_f32_i32_e32 v175, v175                               // 0000000051F8: 7F5E0BAF
	v_mul_f32_e32 v172, v23, v172                              // 0000000051FC: 0B595917
	v_mul_f32_e32 v173, v23, v173                              // 000000005200: 0B5B5B17
	v_mul_f32_e32 v174, v23, v174                              // 000000005204: 0B5D5D17
	v_mul_f32_e32 v175, v23, v175                              // 000000005208: 0B5F5F17
	v_mul_f32_dpp v172, v11, v172 row_newbcast:4 row_mask:0xf bank_mask:0xf// 00000000520C: 0B5958FA FF01540B
	v_mul_f32_dpp v173, v11, v173 row_newbcast:5 row_mask:0xf bank_mask:0xf// 000000005214: 0B5B5AFA FF01550B
	v_mul_f32_dpp v174, v11, v174 row_newbcast:6 row_mask:0xf bank_mask:0xf// 00000000521C: 0B5D5CFA FF01560B
	v_mul_f32_dpp v175, v11, v175 row_newbcast:7 row_mask:0xf bank_mask:0xf// 000000005224: 0B5F5EFA FF01570B
	v_mul_f32_e32 v172, v18, v172                              // 00000000522C: 0B595912
	v_mul_f32_e32 v173, v18, v173                              // 000000005230: 0B5B5B12
	v_mul_f32_e32 v174, v18, v174                              // 000000005234: 0B5D5D12
	v_mul_f32_e32 v175, v18, v175                              // 000000005238: 0B5F5F12
	v_cvt_f32_i32_e32 v176, v176                               // 00000000523C: 7F600BB0
	v_cvt_f32_i32_e32 v177, v177                               // 000000005240: 7F620BB1
	v_cvt_f32_i32_e32 v178, v178                               // 000000005244: 7F640BB2
	v_cvt_f32_i32_e32 v179, v179                               // 000000005248: 7F660BB3
	v_mul_f32_e32 v176, v22, v176                              // 00000000524C: 0B616116
	v_mul_f32_e32 v177, v22, v177                              // 000000005250: 0B636316
	v_mul_f32_e32 v178, v22, v178                              // 000000005254: 0B656516
	v_mul_f32_e32 v179, v22, v179                              // 000000005258: 0B676716
	v_mul_f32_dpp v176, v11, v176 row_newbcast:8 row_mask:0xf bank_mask:0xf// 00000000525C: 0B6160FA FF01580B
	v_mul_f32_dpp v177, v11, v177 row_newbcast:9 row_mask:0xf bank_mask:0xf// 000000005264: 0B6362FA FF01590B
	v_mul_f32_dpp v178, v11, v178 row_newbcast:10 row_mask:0xf bank_mask:0xf// 00000000526C: 0B6564FA FF015A0B
	v_mul_f32_dpp v179, v11, v179 row_newbcast:11 row_mask:0xf bank_mask:0xf// 000000005274: 0B6766FA FF015B0B
	v_mul_f32_e32 v176, v17, v176                              // 00000000527C: 0B616111
	v_mul_f32_e32 v177, v17, v177                              // 000000005280: 0B636311
	v_mul_f32_e32 v178, v17, v178                              // 000000005284: 0B656511
	v_mul_f32_e32 v179, v17, v179                              // 000000005288: 0B676711
	v_cvt_f32_i32_e32 v180, v180                               // 00000000528C: 7F680BB4
	v_cvt_f32_i32_e32 v181, v181                               // 000000005290: 7F6A0BB5
	v_cvt_f32_i32_e32 v182, v182                               // 000000005294: 7F6C0BB6
	v_cvt_f32_i32_e32 v183, v183                               // 000000005298: 7F6E0BB7
	v_mul_f32_e32 v180, v23, v180                              // 00000000529C: 0B696917
	v_mul_f32_e32 v181, v23, v181                              // 0000000052A0: 0B6B6B17
	v_mul_f32_e32 v182, v23, v182                              // 0000000052A4: 0B6D6D17
	v_mul_f32_e32 v183, v23, v183                              // 0000000052A8: 0B6F6F17
	v_mul_f32_dpp v180, v11, v180 row_newbcast:8 row_mask:0xf bank_mask:0xf// 0000000052AC: 0B6968FA FF01580B
	v_mul_f32_dpp v181, v11, v181 row_newbcast:9 row_mask:0xf bank_mask:0xf// 0000000052B4: 0B6B6AFA FF01590B
	v_mul_f32_dpp v182, v11, v182 row_newbcast:10 row_mask:0xf bank_mask:0xf// 0000000052BC: 0B6D6CFA FF015A0B
	v_mul_f32_dpp v183, v11, v183 row_newbcast:11 row_mask:0xf bank_mask:0xf// 0000000052C4: 0B6F6EFA FF015B0B
	v_mul_f32_e32 v180, v18, v180                              // 0000000052CC: 0B696912
	v_mul_f32_e32 v181, v18, v181                              // 0000000052D0: 0B6B6B12
	v_mul_f32_e32 v182, v18, v182                              // 0000000052D4: 0B6D6D12
	v_mul_f32_e32 v183, v18, v183                              // 0000000052D8: 0B6F6F12
	v_cvt_f32_i32_e32 v184, v184                               // 0000000052DC: 7F700BB8
	v_cvt_f32_i32_e32 v185, v185                               // 0000000052E0: 7F720BB9
	v_cvt_f32_i32_e32 v186, v186                               // 0000000052E4: 7F740BBA
	v_cvt_f32_i32_e32 v187, v187                               // 0000000052E8: 7F760BBB
	v_mul_f32_e32 v184, v22, v184                              // 0000000052EC: 0B717116
	v_mul_f32_e32 v185, v22, v185                              // 0000000052F0: 0B737316
	v_mul_f32_e32 v186, v22, v186                              // 0000000052F4: 0B757516
	v_mul_f32_e32 v187, v22, v187                              // 0000000052F8: 0B777716
	v_mul_f32_dpp v184, v11, v184 row_newbcast:12 row_mask:0xf bank_mask:0xf// 0000000052FC: 0B7170FA FF015C0B
	v_mul_f32_dpp v185, v11, v185 row_newbcast:13 row_mask:0xf bank_mask:0xf// 000000005304: 0B7372FA FF015D0B
	v_mul_f32_dpp v186, v11, v186 row_newbcast:14 row_mask:0xf bank_mask:0xf// 00000000530C: 0B7574FA FF015E0B
	v_mul_f32_dpp v187, v11, v187 row_newbcast:15 row_mask:0xf bank_mask:0xf// 000000005314: 0B7776FA FF015F0B
	v_mul_f32_e32 v184, v17, v184                              // 00000000531C: 0B717111
	v_mul_f32_e32 v185, v17, v185                              // 000000005320: 0B737311
	v_mul_f32_e32 v186, v17, v186                              // 000000005324: 0B757511
	v_mul_f32_e32 v187, v17, v187                              // 000000005328: 0B777711
	v_cvt_f32_i32_e32 v188, v188                               // 00000000532C: 7F780BBC
	v_cvt_f32_i32_e32 v189, v189                               // 000000005330: 7F7A0BBD
	v_cvt_f32_i32_e32 v190, v190                               // 000000005334: 7F7C0BBE
	v_cvt_f32_i32_e32 v191, v191                               // 000000005338: 7F7E0BBF
	v_mul_f32_e32 v188, v23, v188                              // 00000000533C: 0B797917
	v_mul_f32_e32 v189, v23, v189                              // 000000005340: 0B7B7B17
	v_mul_f32_e32 v190, v23, v190                              // 000000005344: 0B7D7D17
	v_mul_f32_e32 v191, v23, v191                              // 000000005348: 0B7F7F17
	v_mul_f32_dpp v188, v11, v188 row_newbcast:12 row_mask:0xf bank_mask:0xf// 00000000534C: 0B7978FA FF015C0B
	v_mul_f32_dpp v189, v11, v189 row_newbcast:13 row_mask:0xf bank_mask:0xf// 000000005354: 0B7B7AFA FF015D0B
	v_mul_f32_dpp v190, v11, v190 row_newbcast:14 row_mask:0xf bank_mask:0xf// 00000000535C: 0B7D7CFA FF015E0B
	v_mul_f32_dpp v191, v11, v191 row_newbcast:15 row_mask:0xf bank_mask:0xf// 000000005364: 0B7F7EFA FF015F0B
	v_mul_f32_e32 v188, v18, v188                              // 00000000536C: 0B797912
	v_mul_f32_e32 v189, v18, v189                              // 000000005370: 0B7B7B12
	v_mul_f32_e32 v190, v18, v190                              // 000000005374: 0B7D7D12
	v_mul_f32_e32 v191, v18, v191                              // 000000005378: 0B7F7F12
	v_cmp_u_f32_e64 s[48:49], v160, v160                       // 00000000537C: D0480030 000341A0
	v_add3_u32 v40, v160, v43, 1                               // 000000005384: D1FF0028 020657A0
	v_cndmask_b32_e64 v44, v40, v42, s[48:49]                  // 00000000538C: D100002C 00C25528
	v_cmp_u_f32_e64 s[48:49], v161, v161                       // 000000005394: D0480030 000343A1
	v_add3_u32 v40, v161, v43, 1                               // 00000000539C: D1FF0028 020657A1
	v_cndmask_b32_e64 v45, v40, v42, s[48:49]                  // 0000000053A4: D100002D 00C25528
	v_perm_b32 v160, v45, v44, s52                             // 0000000053AC: D1ED00A0 00D2592D
	v_cmp_u_f32_e64 s[48:49], v162, v162                       // 0000000053B4: D0480030 000345A2
	v_add3_u32 v40, v162, v43, 1                               // 0000000053BC: D1FF0028 020657A2
	v_cndmask_b32_e64 v44, v40, v42, s[48:49]                  // 0000000053C4: D100002C 00C25528
	v_cmp_u_f32_e64 s[48:49], v163, v163                       // 0000000053CC: D0480030 000347A3
	v_add3_u32 v40, v163, v43, 1                               // 0000000053D4: D1FF0028 020657A3
	v_cndmask_b32_e64 v45, v40, v42, s[48:49]                  // 0000000053DC: D100002D 00C25528
	v_perm_b32 v161, v45, v44, s52                             // 0000000053E4: D1ED00A1 00D2592D
	v_cmp_u_f32_e64 s[48:49], v164, v164                       // 0000000053EC: D0480030 000349A4
	v_add3_u32 v40, v164, v43, 1                               // 0000000053F4: D1FF0028 020657A4
	v_cndmask_b32_e64 v44, v40, v42, s[48:49]                  // 0000000053FC: D100002C 00C25528
	v_cmp_u_f32_e64 s[48:49], v165, v165                       // 000000005404: D0480030 00034BA5
	v_add3_u32 v40, v165, v43, 1                               // 00000000540C: D1FF0028 020657A5
	v_cndmask_b32_e64 v45, v40, v42, s[48:49]                  // 000000005414: D100002D 00C25528
	v_perm_b32 v162, v45, v44, s52                             // 00000000541C: D1ED00A2 00D2592D
	v_cmp_u_f32_e64 s[48:49], v166, v166                       // 000000005424: D0480030 00034DA6
	v_add3_u32 v40, v166, v43, 1                               // 00000000542C: D1FF0028 020657A6
	v_cndmask_b32_e64 v44, v40, v42, s[48:49]                  // 000000005434: D100002C 00C25528
	v_cmp_u_f32_e64 s[48:49], v167, v167                       // 00000000543C: D0480030 00034FA7
	v_add3_u32 v40, v167, v43, 1                               // 000000005444: D1FF0028 020657A7
	v_cndmask_b32_e64 v45, v40, v42, s[48:49]                  // 00000000544C: D100002D 00C25528
	v_perm_b32 v163, v45, v44, s52                             // 000000005454: D1ED00A3 00D2592D
	v_cmp_u_f32_e64 s[48:49], v168, v168                       // 00000000545C: D0480030 000351A8
	v_add3_u32 v40, v168, v43, 1                               // 000000005464: D1FF0028 020657A8
	v_cndmask_b32_e64 v44, v40, v42, s[48:49]                  // 00000000546C: D100002C 00C25528
	v_cmp_u_f32_e64 s[48:49], v169, v169                       // 000000005474: D0480030 000353A9
	v_add3_u32 v40, v169, v43, 1                               // 00000000547C: D1FF0028 020657A9
	v_cndmask_b32_e64 v45, v40, v42, s[48:49]                  // 000000005484: D100002D 00C25528
	v_perm_b32 v164, v45, v44, s52                             // 00000000548C: D1ED00A4 00D2592D
	v_cmp_u_f32_e64 s[48:49], v170, v170                       // 000000005494: D0480030 000355AA
	v_add3_u32 v40, v170, v43, 1                               // 00000000549C: D1FF0028 020657AA
	v_cndmask_b32_e64 v44, v40, v42, s[48:49]                  // 0000000054A4: D100002C 00C25528
	v_cmp_u_f32_e64 s[48:49], v171, v171                       // 0000000054AC: D0480030 000357AB
	v_add3_u32 v40, v171, v43, 1                               // 0000000054B4: D1FF0028 020657AB
	v_cndmask_b32_e64 v45, v40, v42, s[48:49]                  // 0000000054BC: D100002D 00C25528
	v_perm_b32 v165, v45, v44, s52                             // 0000000054C4: D1ED00A5 00D2592D
	v_cmp_u_f32_e64 s[48:49], v172, v172                       // 0000000054CC: D0480030 000359AC
	v_add3_u32 v40, v172, v43, 1                               // 0000000054D4: D1FF0028 020657AC
	v_cndmask_b32_e64 v44, v40, v42, s[48:49]                  // 0000000054DC: D100002C 00C25528
	v_cmp_u_f32_e64 s[48:49], v173, v173                       // 0000000054E4: D0480030 00035BAD
	v_add3_u32 v40, v173, v43, 1                               // 0000000054EC: D1FF0028 020657AD
	v_cndmask_b32_e64 v45, v40, v42, s[48:49]                  // 0000000054F4: D100002D 00C25528
	v_perm_b32 v166, v45, v44, s52                             // 0000000054FC: D1ED00A6 00D2592D
	v_cmp_u_f32_e64 s[48:49], v174, v174                       // 000000005504: D0480030 00035DAE
	v_add3_u32 v40, v174, v43, 1                               // 00000000550C: D1FF0028 020657AE
	v_cndmask_b32_e64 v44, v40, v42, s[48:49]                  // 000000005514: D100002C 00C25528
	v_cmp_u_f32_e64 s[48:49], v175, v175                       // 00000000551C: D0480030 00035FAF
	v_add3_u32 v40, v175, v43, 1                               // 000000005524: D1FF0028 020657AF
	v_cndmask_b32_e64 v45, v40, v42, s[48:49]                  // 00000000552C: D100002D 00C25528
	v_perm_b32 v167, v45, v44, s52                             // 000000005534: D1ED00A7 00D2592D
	v_cmp_u_f32_e64 s[48:49], v176, v176                       // 00000000553C: D0480030 000361B0
	v_add3_u32 v40, v176, v43, 1                               // 000000005544: D1FF0028 020657B0
	v_cndmask_b32_e64 v44, v40, v42, s[48:49]                  // 00000000554C: D100002C 00C25528
	v_cmp_u_f32_e64 s[48:49], v177, v177                       // 000000005554: D0480030 000363B1
	v_add3_u32 v40, v177, v43, 1                               // 00000000555C: D1FF0028 020657B1
	v_cndmask_b32_e64 v45, v40, v42, s[48:49]                  // 000000005564: D100002D 00C25528
	v_perm_b32 v168, v45, v44, s52                             // 00000000556C: D1ED00A8 00D2592D
	v_cmp_u_f32_e64 s[48:49], v178, v178                       // 000000005574: D0480030 000365B2
	v_add3_u32 v40, v178, v43, 1                               // 00000000557C: D1FF0028 020657B2
	v_cndmask_b32_e64 v44, v40, v42, s[48:49]                  // 000000005584: D100002C 00C25528
	v_cmp_u_f32_e64 s[48:49], v179, v179                       // 00000000558C: D0480030 000367B3
	v_add3_u32 v40, v179, v43, 1                               // 000000005594: D1FF0028 020657B3
	v_cndmask_b32_e64 v45, v40, v42, s[48:49]                  // 00000000559C: D100002D 00C25528
	v_perm_b32 v169, v45, v44, s52                             // 0000000055A4: D1ED00A9 00D2592D
	v_cmp_u_f32_e64 s[48:49], v180, v180                       // 0000000055AC: D0480030 000369B4
	v_add3_u32 v40, v180, v43, 1                               // 0000000055B4: D1FF0028 020657B4
	v_cndmask_b32_e64 v44, v40, v42, s[48:49]                  // 0000000055BC: D100002C 00C25528
	v_cmp_u_f32_e64 s[48:49], v181, v181                       // 0000000055C4: D0480030 00036BB5
	v_add3_u32 v40, v181, v43, 1                               // 0000000055CC: D1FF0028 020657B5
	v_cndmask_b32_e64 v45, v40, v42, s[48:49]                  // 0000000055D4: D100002D 00C25528
	v_perm_b32 v170, v45, v44, s52                             // 0000000055DC: D1ED00AA 00D2592D
	v_cmp_u_f32_e64 s[48:49], v182, v182                       // 0000000055E4: D0480030 00036DB6
	v_add3_u32 v40, v182, v43, 1                               // 0000000055EC: D1FF0028 020657B6
	v_cndmask_b32_e64 v44, v40, v42, s[48:49]                  // 0000000055F4: D100002C 00C25528
	v_cmp_u_f32_e64 s[48:49], v183, v183                       // 0000000055FC: D0480030 00036FB7
	v_add3_u32 v40, v183, v43, 1                               // 000000005604: D1FF0028 020657B7
	v_cndmask_b32_e64 v45, v40, v42, s[48:49]                  // 00000000560C: D100002D 00C25528
	v_perm_b32 v171, v45, v44, s52                             // 000000005614: D1ED00AB 00D2592D
	v_cmp_u_f32_e64 s[48:49], v184, v184                       // 00000000561C: D0480030 000371B8
	v_add3_u32 v40, v184, v43, 1                               // 000000005624: D1FF0028 020657B8
	v_cndmask_b32_e64 v44, v40, v42, s[48:49]                  // 00000000562C: D100002C 00C25528
	v_cmp_u_f32_e64 s[48:49], v185, v185                       // 000000005634: D0480030 000373B9
	v_add3_u32 v40, v185, v43, 1                               // 00000000563C: D1FF0028 020657B9
	v_cndmask_b32_e64 v45, v40, v42, s[48:49]                  // 000000005644: D100002D 00C25528
	v_perm_b32 v172, v45, v44, s52                             // 00000000564C: D1ED00AC 00D2592D
	v_cmp_u_f32_e64 s[48:49], v186, v186                       // 000000005654: D0480030 000375BA
	v_add3_u32 v40, v186, v43, 1                               // 00000000565C: D1FF0028 020657BA
	v_cndmask_b32_e64 v44, v40, v42, s[48:49]                  // 000000005664: D100002C 00C25528
	v_cmp_u_f32_e64 s[48:49], v187, v187                       // 00000000566C: D0480030 000377BB
	v_add3_u32 v40, v187, v43, 1                               // 000000005674: D1FF0028 020657BB
	v_cndmask_b32_e64 v45, v40, v42, s[48:49]                  // 00000000567C: D100002D 00C25528
	v_perm_b32 v173, v45, v44, s52                             // 000000005684: D1ED00AD 00D2592D
	v_cmp_u_f32_e64 s[48:49], v188, v188                       // 00000000568C: D0480030 000379BC
	v_add3_u32 v40, v188, v43, 1                               // 000000005694: D1FF0028 020657BC
	v_cndmask_b32_e64 v44, v40, v42, s[48:49]                  // 00000000569C: D100002C 00C25528
	v_cmp_u_f32_e64 s[48:49], v189, v189                       // 0000000056A4: D0480030 00037BBD
	v_add3_u32 v40, v189, v43, 1                               // 0000000056AC: D1FF0028 020657BD
	v_cndmask_b32_e64 v45, v40, v42, s[48:49]                  // 0000000056B4: D100002D 00C25528
	v_perm_b32 v174, v45, v44, s52                             // 0000000056BC: D1ED00AE 00D2592D
	v_cmp_u_f32_e64 s[48:49], v190, v190                       // 0000000056C4: D0480030 00037DBE
	v_add3_u32 v40, v190, v43, 1                               // 0000000056CC: D1FF0028 020657BE
	v_cndmask_b32_e64 v44, v40, v42, s[48:49]                  // 0000000056D4: D100002C 00C25528
	v_cmp_u_f32_e64 s[48:49], v191, v191                       // 0000000056DC: D0480030 00037FBF
	v_add3_u32 v40, v191, v43, 1                               // 0000000056E4: D1FF0028 020657BF
	v_cndmask_b32_e64 v45, v40, v42, s[48:49]                  // 0000000056EC: D100002D 00C25528
	v_perm_b32 v175, v45, v44, s52                             // 0000000056F4: D1ED00AF 00D2592D
	ds_write_b64 v3, v[160:161] offset:26880                   // 0000000056FC: D89A6900 0000A003
	ds_write_b64 v3, v[162:163] offset:35584                   // 000000005704: D89A8B00 0000A203
	ds_write_b64 v3, v[164:165] offset:29056                   // 00000000570C: D89A7180 0000A403
	ds_write_b64 v3, v[166:167] offset:37760                   // 000000005714: D89A9380 0000A603
	ds_write_b64 v3, v[168:169] offset:31232                   // 00000000571C: D89A7A00 0000A803
	ds_write_b64 v3, v[170:171] offset:39936                   // 000000005724: D89A9C00 0000AA03
	ds_write_b64 v3, v[172:173] offset:33408                   // 00000000572C: D89A8280 0000AC03
	ds_write_b64 v3, v[174:175] offset:42112                   // 000000005734: D89AA480 0000AE03
	s_waitcnt lgkmcnt(0)                                       // 00000000573C: BF8CC07F
	s_barrier                                                  // 000000005740: BF8A0000
	ds_read_b32 v64, v4 offset:26880                           // 000000005744: D86C6900 40000004
	ds_read_b32 v65, v4 offset:31232                           // 00000000574C: D86C7A00 41000004
	ds_read_b32 v66, v4 offset:26912                           // 000000005754: D86C6920 42000004
	ds_read_b32 v67, v4 offset:31264                           // 00000000575C: D86C7A20 43000004
	ds_read_b32 v68, v4 offset:26944                           // 000000005764: D86C6940 44000004
	ds_read_b32 v69, v4 offset:31296                           // 00000000576C: D86C7A40 45000004
	ds_read_b32 v70, v4 offset:26976                           // 000000005774: D86C6960 46000004
	ds_read_b32 v71, v4 offset:31328                           // 00000000577C: D86C7A60 47000004
	ds_read_b32 v72, v4 offset:35584                           // 000000005784: D86C8B00 48000004
	ds_read_b32 v73, v4 offset:39936                           // 00000000578C: D86C9C00 49000004
	ds_read_b32 v74, v4 offset:35616                           // 000000005794: D86C8B20 4A000004
	ds_read_b32 v75, v4 offset:39968                           // 00000000579C: D86C9C20 4B000004
	ds_read_b32 v76, v4 offset:35648                           // 0000000057A4: D86C8B40 4C000004
	ds_read_b32 v77, v4 offset:40000                           // 0000000057AC: D86C9C40 4D000004
	ds_read_b32 v78, v4 offset:35680                           // 0000000057B4: D86C8B60 4E000004
	ds_read_b32 v79, v4 offset:40032                           // 0000000057BC: D86C9C60 4F000004
	s_waitcnt lgkmcnt(0)                                       // 0000000057C4: BF8CC07F
	s_mov_b64 exec, s[20:21]                                   // 0000000057C8: BEFE0114
	global_atomic_pk_add_bf16 v80, v64, s[8:9]                 // 0000000057CC: DD488000 00084050
	s_mov_b64 exec, s[36:37]                                   // 0000000057D4: BEFE0124
	s_mov_b64 exec, s[20:21]                                   // 0000000057D8: BEFE0114
	global_atomic_pk_add_bf16 v80, v65, s[8:9] offset:256      // 0000000057DC: DD488100 00084150
	s_mov_b64 exec, s[36:37]                                   // 0000000057E4: BEFE0124
	s_mov_b64 exec, s[22:23]                                   // 0000000057E8: BEFE0116
	global_atomic_pk_add_bf16 v82, v66, s[8:9]                 // 0000000057EC: DD488000 00084252
	s_mov_b64 exec, s[36:37]                                   // 0000000057F4: BEFE0124
	s_mov_b64 exec, s[22:23]                                   // 0000000057F8: BEFE0116
	global_atomic_pk_add_bf16 v82, v67, s[8:9] offset:256      // 0000000057FC: DD488100 00084352
	s_mov_b64 exec, s[36:37]                                   // 000000005804: BEFE0124
	s_mov_b64 exec, s[24:25]                                   // 000000005808: BEFE0118
	global_atomic_pk_add_bf16 v84, v68, s[8:9]                 // 00000000580C: DD488000 00084454
	s_mov_b64 exec, s[36:37]                                   // 000000005814: BEFE0124
	s_mov_b64 exec, s[24:25]                                   // 000000005818: BEFE0118
	global_atomic_pk_add_bf16 v84, v69, s[8:9] offset:256      // 00000000581C: DD488100 00084554
	s_mov_b64 exec, s[36:37]                                   // 000000005824: BEFE0124
	s_mov_b64 exec, s[26:27]                                   // 000000005828: BEFE011A
	global_atomic_pk_add_bf16 v86, v70, s[8:9]                 // 00000000582C: DD488000 00084656
	s_mov_b64 exec, s[36:37]                                   // 000000005834: BEFE0124
	s_mov_b64 exec, s[26:27]                                   // 000000005838: BEFE011A
	global_atomic_pk_add_bf16 v86, v71, s[8:9] offset:256      // 00000000583C: DD488100 00084756
	s_mov_b64 exec, s[36:37]                                   // 000000005844: BEFE0124
	s_mov_b64 exec, s[28:29]                                   // 000000005848: BEFE011C
	global_atomic_pk_add_bf16 v88, v72, s[8:9]                 // 00000000584C: DD488000 00084858
	s_mov_b64 exec, s[36:37]                                   // 000000005854: BEFE0124
	s_mov_b64 exec, s[28:29]                                   // 000000005858: BEFE011C
	global_atomic_pk_add_bf16 v88, v73, s[8:9] offset:256      // 00000000585C: DD488100 00084958
	s_mov_b64 exec, s[36:37]                                   // 000000005864: BEFE0124
	s_mov_b64 exec, s[30:31]                                   // 000000005868: BEFE011E
	global_atomic_pk_add_bf16 v90, v74, s[8:9]                 // 00000000586C: DD488000 00084A5A
	s_mov_b64 exec, s[36:37]                                   // 000000005874: BEFE0124
	s_mov_b64 exec, s[30:31]                                   // 000000005878: BEFE011E
	global_atomic_pk_add_bf16 v90, v75, s[8:9] offset:256      // 00000000587C: DD488100 00084B5A
	s_mov_b64 exec, s[36:37]                                   // 000000005884: BEFE0124
	s_mov_b64 exec, s[32:33]                                   // 000000005888: BEFE0120
	global_atomic_pk_add_bf16 v92, v76, s[8:9]                 // 00000000588C: DD488000 00084C5C
	s_mov_b64 exec, s[36:37]                                   // 000000005894: BEFE0124
	s_mov_b64 exec, s[32:33]                                   // 000000005898: BEFE0120
	global_atomic_pk_add_bf16 v92, v77, s[8:9] offset:256      // 00000000589C: DD488100 00084D5C
	s_mov_b64 exec, s[36:37]                                   // 0000000058A4: BEFE0124
	s_mov_b64 exec, s[34:35]                                   // 0000000058A8: BEFE0122
	global_atomic_pk_add_bf16 v94, v78, s[8:9]                 // 0000000058AC: DD488000 00084E5E
	s_mov_b64 exec, s[36:37]                                   // 0000000058B4: BEFE0124
	s_mov_b64 exec, s[34:35]                                   // 0000000058B8: BEFE0122
	global_atomic_pk_add_bf16 v94, v79, s[8:9] offset:256      // 0000000058BC: DD488100 00084F5E
	s_mov_b64 exec, s[36:37]                                   // 0000000058C4: BEFE0124
	s_add_u32 s8, s59, s8                                      // 0000000058C8: 8008083B
	s_addc_u32 s9, 0, s9                                       // 0000000058CC: 82090980
	s_addk_i32 s80, 0x100                                      // 0000000058D0: B7500100
	s_cmp_lt_i32 s80, s81                                      // 0000000058D4: BF045150
	s_cbranch_scc0 label_0D67                                  // 0000000058D8: BF8402B0
	s_waitcnt vmcnt(29)                                        // 0000000058DC: BF8C4F7D
	s_barrier                                                  // 0000000058E0: BF8A0000
	v_mfma_i32_16x16x32_i8 v[192:195], a[64:65], v[128:129], 0 // 0000000058E4: D3D700C0 0A030140
	v_mfma_i32_16x16x32_i8 v[192:195], a[66:67], v[130:131], v[192:195]// 0000000058EC: D3D700C0 0F030542
	buffer_load_dwordx4 a[0:3], v36, s[12:15], 0 offen         // 0000000058F4: E05C1000 80830024
	v_mfma_i32_16x16x32_i8 v[196:199], a[64:65], v[144:145], 0 // 0000000058FC: D3D700C4 0A032140
	v_mfma_i32_16x16x32_i8 v[196:199], a[66:67], v[146:147], v[196:199]// 000000005904: D3D700C4 0F132542
	v_mfma_i32_16x16x32_i8 v[200:203], a[68:69], v[128:129], 0 // 00000000590C: D3D700C8 0A030144
	v_mfma_i32_16x16x32_i8 v[200:203], a[70:71], v[130:131], v[200:203]// 000000005914: D3D700C8 0F230546
	buffer_load_dwordx4 a[4:7], v37, s[12:15], 0 offen         // 00000000591C: E05C1000 80830425
	v_mfma_i32_16x16x32_i8 v[204:207], a[68:69], v[144:145], 0 // 000000005924: D3D700CC 0A032144
	v_mfma_i32_16x16x32_i8 v[204:207], a[70:71], v[146:147], v[204:207]// 00000000592C: D3D700CC 0F332546
	v_mfma_i32_16x16x32_i8 v[208:211], a[72:73], v[128:129], 0 // 000000005934: D3D700D0 0A030148
	v_mfma_i32_16x16x32_i8 v[208:211], a[74:75], v[130:131], v[208:211]// 00000000593C: D3D700D0 0F43054A
	buffer_load_dwordx4 a[8:11], v38, s[12:15], 0 offen        // 000000005944: E05C1000 80830826
	v_mfma_i32_16x16x32_i8 v[212:215], a[72:73], v[144:145], 0 // 00000000594C: D3D700D4 0A032148
	v_mfma_i32_16x16x32_i8 v[212:215], a[74:75], v[146:147], v[212:215]// 000000005954: D3D700D4 0F53254A
	v_mfma_i32_16x16x32_i8 v[216:219], a[76:77], v[128:129], 0 // 00000000595C: D3D700D8 0A03014C
	v_mfma_i32_16x16x32_i8 v[216:219], a[78:79], v[130:131], v[216:219]// 000000005964: D3D700D8 0F63054E
	buffer_load_dwordx4 a[12:15], v39, s[12:15], 0 offen       // 00000000596C: E05C1000 80830C27
	s_add_u32 s12, s78, s12                                    // 000000005974: 800C0C4E
	s_addc_u32 s13, 0, s13                                     // 000000005978: 820D0D80
	v_mfma_i32_16x16x32_i8 v[220:223], a[76:77], v[144:145], 0 // 00000000597C: D3D700DC 0A03214C
	v_mfma_i32_16x16x32_i8 v[220:223], a[78:79], v[146:147], v[220:223]// 000000005984: D3D700DC 0F73254E
	s_waitcnt vmcnt(29)                                        // 00000000598C: BF8C4F7D
	v_mfma_i32_16x16x32_i8 v[192:195], a[80:81], v[132:133], v[192:195]// 000000005990: D3D700C0 0F030950
	v_mfma_i32_16x16x32_i8 v[192:195], a[82:83], v[134:135], v[192:195]// 000000005998: D3D700C0 0F030D52
	buffer_load_dwordx4 a[16:19], v36, s[12:15], 0 offen       // 0000000059A0: E05C1000 80831024
	v_mfma_i32_16x16x32_i8 v[196:199], a[80:81], v[148:149], v[196:199]// 0000000059A8: D3D700C4 0F132950
	v_mfma_i32_16x16x32_i8 v[196:199], a[82:83], v[150:151], v[196:199]// 0000000059B0: D3D700C4 0F132D52
	v_mfma_i32_16x16x32_i8 v[200:203], a[84:85], v[132:133], v[200:203]// 0000000059B8: D3D700C8 0F230954
	v_mfma_i32_16x16x32_i8 v[200:203], a[86:87], v[134:135], v[200:203]// 0000000059C0: D3D700C8 0F230D56
	buffer_load_dwordx4 a[20:23], v37, s[12:15], 0 offen       // 0000000059C8: E05C1000 80831425
	v_mfma_i32_16x16x32_i8 v[204:207], a[84:85], v[148:149], v[204:207]// 0000000059D0: D3D700CC 0F332954
	v_mfma_i32_16x16x32_i8 v[204:207], a[86:87], v[150:151], v[204:207]// 0000000059D8: D3D700CC 0F332D56
	v_mfma_i32_16x16x32_i8 v[208:211], a[88:89], v[132:133], v[208:211]// 0000000059E0: D3D700D0 0F430958
	v_mfma_i32_16x16x32_i8 v[208:211], a[90:91], v[134:135], v[208:211]// 0000000059E8: D3D700D0 0F430D5A
	buffer_load_dwordx4 a[24:27], v38, s[12:15], 0 offen       // 0000000059F0: E05C1000 80831826
	v_mfma_i32_16x16x32_i8 v[212:215], a[88:89], v[148:149], v[212:215]// 0000000059F8: D3D700D4 0F532958
	v_mfma_i32_16x16x32_i8 v[212:215], a[90:91], v[150:151], v[212:215]// 000000005A00: D3D700D4 0F532D5A
	v_mfma_i32_16x16x32_i8 v[216:219], a[92:93], v[132:133], v[216:219]// 000000005A08: D3D700D8 0F63095C
	v_mfma_i32_16x16x32_i8 v[216:219], a[94:95], v[134:135], v[216:219]// 000000005A10: D3D700D8 0F630D5E
	buffer_load_dwordx4 a[28:31], v39, s[12:15], 0 offen       // 000000005A18: E05C1000 80831C27
	s_add_u32 s12, s78, s12                                    // 000000005A20: 800C0C4E
	s_addc_u32 s13, 0, s13                                     // 000000005A24: 820D0D80
	v_mfma_i32_16x16x32_i8 v[220:223], a[92:93], v[148:149], v[220:223]// 000000005A28: D3D700DC 0F73295C
	v_mfma_i32_16x16x32_i8 v[220:223], a[94:95], v[150:151], v[220:223]// 000000005A30: D3D700DC 0F732D5E
	s_waitcnt vmcnt(29)                                        // 000000005A38: BF8C4F7D
	v_mfma_i32_16x16x32_i8 v[192:195], a[96:97], v[136:137], v[192:195]// 000000005A3C: D3D700C0 0F031160
	v_mfma_i32_16x16x32_i8 v[192:195], a[98:99], v[138:139], v[192:195]// 000000005A44: D3D700C0 0F031562
	buffer_load_dwordx4 a[32:35], v36, s[12:15], 0 offen       // 000000005A4C: E05C1000 80832024
	v_mfma_i32_16x16x32_i8 v[196:199], a[96:97], v[152:153], v[196:199]// 000000005A54: D3D700C4 0F133160
	v_mfma_i32_16x16x32_i8 v[196:199], a[98:99], v[154:155], v[196:199]// 000000005A5C: D3D700C4 0F133562
	v_mfma_i32_16x16x32_i8 v[200:203], a[100:101], v[136:137], v[200:203]// 000000005A64: D3D700C8 0F231164
	v_mfma_i32_16x16x32_i8 v[200:203], a[102:103], v[138:139], v[200:203]// 000000005A6C: D3D700C8 0F231566
	buffer_load_dwordx4 a[36:39], v37, s[12:15], 0 offen       // 000000005A74: E05C1000 80832425
	v_mfma_i32_16x16x32_i8 v[204:207], a[100:101], v[152:153], v[204:207]// 000000005A7C: D3D700CC 0F333164
	v_mfma_i32_16x16x32_i8 v[204:207], a[102:103], v[154:155], v[204:207]// 000000005A84: D3D700CC 0F333566
	v_mfma_i32_16x16x32_i8 v[208:211], a[104:105], v[136:137], v[208:211]// 000000005A8C: D3D700D0 0F431168
	v_mfma_i32_16x16x32_i8 v[208:211], a[106:107], v[138:139], v[208:211]// 000000005A94: D3D700D0 0F43156A
	buffer_load_dwordx4 a[40:43], v38, s[12:15], 0 offen       // 000000005A9C: E05C1000 80832826
	v_mfma_i32_16x16x32_i8 v[212:215], a[104:105], v[152:153], v[212:215]// 000000005AA4: D3D700D4 0F533168
	v_mfma_i32_16x16x32_i8 v[212:215], a[106:107], v[154:155], v[212:215]// 000000005AAC: D3D700D4 0F53356A
	v_mfma_i32_16x16x32_i8 v[216:219], a[108:109], v[136:137], v[216:219]// 000000005AB4: D3D700D8 0F63116C
	v_mfma_i32_16x16x32_i8 v[216:219], a[110:111], v[138:139], v[216:219]// 000000005ABC: D3D700D8 0F63156E
	buffer_load_dwordx4 a[44:47], v39, s[12:15], 0 offen       // 000000005AC4: E05C1000 80832C27
	s_add_u32 s12, s78, s12                                    // 000000005ACC: 800C0C4E
	s_addc_u32 s13, 0, s13                                     // 000000005AD0: 820D0D80
	v_mfma_i32_16x16x32_i8 v[220:223], a[108:109], v[152:153], v[220:223]// 000000005AD4: D3D700DC 0F73316C
	v_mfma_i32_16x16x32_i8 v[220:223], a[110:111], v[154:155], v[220:223]// 000000005ADC: D3D700DC 0F73356E
	s_waitcnt vmcnt(28)                                        // 000000005AE4: BF8C4F7C
	v_mfma_i32_16x16x32_i8 v[192:195], a[112:113], v[140:141], v[192:195]// 000000005AE8: D3D700C0 0F031970
	v_mfma_i32_16x16x32_i8 v[192:195], a[114:115], v[142:143], v[192:195]// 000000005AF0: D3D700C0 0F031D72
	buffer_load_dwordx4 a[48:51], v36, s[12:15], 0 offen       // 000000005AF8: E05C1000 80833024
	v_mfma_i32_16x16x32_i8 v[196:199], a[112:113], v[156:157], v[196:199]// 000000005B00: D3D700C4 0F133970
	v_mfma_i32_16x16x32_i8 v[196:199], a[114:115], v[158:159], v[196:199]// 000000005B08: D3D700C4 0F133D72
	buffer_load_dword v11, v5, s[16:19], 0 offen               // 000000005B10: E0501000 80040B05
	v_mfma_i32_16x16x32_i8 v[200:203], a[116:117], v[140:141], v[200:203]// 000000005B18: D3D700C8 0F231974
	v_mfma_i32_16x16x32_i8 v[200:203], a[118:119], v[142:143], v[200:203]// 000000005B20: D3D700C8 0F231D76
	buffer_load_dwordx4 a[52:55], v37, s[12:15], 0 offen       // 000000005B28: E05C1000 80833425
	v_mfma_i32_16x16x32_i8 v[204:207], a[116:117], v[156:157], v[204:207]// 000000005B30: D3D700CC 0F333974
	v_mfma_i32_16x16x32_i8 v[204:207], a[118:119], v[158:159], v[204:207]// 000000005B38: D3D700CC 0F333D76
	v_mfma_i32_16x16x32_i8 v[208:211], a[120:121], v[140:141], v[208:211]// 000000005B40: D3D700D0 0F431978
	v_mfma_i32_16x16x32_i8 v[208:211], a[122:123], v[142:143], v[208:211]// 000000005B48: D3D700D0 0F431D7A
	buffer_load_dwordx4 a[56:59], v38, s[12:15], 0 offen       // 000000005B50: E05C1000 80833826
	v_mfma_i32_16x16x32_i8 v[212:215], a[120:121], v[156:157], v[212:215]// 000000005B58: D3D700D4 0F533978
	v_mfma_i32_16x16x32_i8 v[212:215], a[122:123], v[158:159], v[212:215]// 000000005B60: D3D700D4 0F533D7A
	v_mfma_i32_16x16x32_i8 v[216:219], a[124:125], v[140:141], v[216:219]// 000000005B68: D3D700D8 0F63197C
	v_mfma_i32_16x16x32_i8 v[216:219], a[126:127], v[142:143], v[216:219]// 000000005B70: D3D700D8 0F631D7E
	buffer_load_dwordx4 a[60:63], v39, s[12:15], 0 offen       // 000000005B78: E05C1000 80833C27
	v_mfma_i32_16x16x32_i8 v[220:223], a[124:125], v[156:157], v[220:223]// 000000005B80: D3D700DC 0F73397C
	v_mfma_i32_16x16x32_i8 v[220:223], a[126:127], v[158:159], v[220:223]// 000000005B88: D3D700DC 0F733D7E
	s_add_u32 s60, 0x200, s80                                  // 000000005B90: 803C50FF 00000200
	s_cmp_lt_u32 s60, s81                                      // 000000005B98: BF0A513C
	s_cselect_b32 s56, s56, 0                                  // 000000005B9C: 85388038
	s_cselect_b32 s78, s78, 0                                  // 000000005BA0: 854E804E
	s_cselect_b32 s79, s79, 0                                  // 000000005BA4: 854F804F
	s_add_u32 s12, s56, s12                                    // 000000005BA8: 800C0C38
	s_addc_u32 s13, 0, s13                                     // 000000005BAC: 820D0D80
	s_add_u32 s16, s79, s16                                    // 000000005BB0: 8010104F
	s_addc_u32 s17, 0, s17                                     // 000000005BB4: 82111180
	v_cvt_f32_i32_e32 v192, v192                               // 000000005BB8: 7F800BC0
	v_cvt_f32_i32_e32 v193, v193                               // 000000005BBC: 7F820BC1
	v_cvt_f32_i32_e32 v194, v194                               // 000000005BC0: 7F840BC2
	v_cvt_f32_i32_e32 v195, v195                               // 000000005BC4: 7F860BC3
	v_mul_f32_e32 v192, v22, v192                              // 000000005BC8: 0B818116
	v_mul_f32_e32 v193, v22, v193                              // 000000005BCC: 0B838316
	v_mul_f32_e32 v194, v22, v194                              // 000000005BD0: 0B858516
	v_mul_f32_e32 v195, v22, v195                              // 000000005BD4: 0B878716
	v_mul_f32_dpp v192, v12, v192 row_newbcast:0 row_mask:0xf bank_mask:0xf// 000000005BD8: 0B8180FA FF01500C
	v_mul_f32_dpp v193, v12, v193 row_newbcast:1 row_mask:0xf bank_mask:0xf// 000000005BE0: 0B8382FA FF01510C
	v_mul_f32_dpp v194, v12, v194 row_newbcast:2 row_mask:0xf bank_mask:0xf// 000000005BE8: 0B8584FA FF01520C
	v_mul_f32_dpp v195, v12, v195 row_newbcast:3 row_mask:0xf bank_mask:0xf// 000000005BF0: 0B8786FA FF01530C
	v_mul_f32_e32 v192, v17, v192                              // 000000005BF8: 0B818111
	v_mul_f32_e32 v193, v17, v193                              // 000000005BFC: 0B838311
	v_mul_f32_e32 v194, v17, v194                              // 000000005C00: 0B858511
	v_mul_f32_e32 v195, v17, v195                              // 000000005C04: 0B878711
	v_cvt_f32_i32_e32 v196, v196                               // 000000005C08: 7F880BC4
	v_cvt_f32_i32_e32 v197, v197                               // 000000005C0C: 7F8A0BC5
	v_cvt_f32_i32_e32 v198, v198                               // 000000005C10: 7F8C0BC6
	v_cvt_f32_i32_e32 v199, v199                               // 000000005C14: 7F8E0BC7
	v_mul_f32_e32 v196, v23, v196                              // 000000005C18: 0B898917
	v_mul_f32_e32 v197, v23, v197                              // 000000005C1C: 0B8B8B17
	v_mul_f32_e32 v198, v23, v198                              // 000000005C20: 0B8D8D17
	v_mul_f32_e32 v199, v23, v199                              // 000000005C24: 0B8F8F17
	v_mul_f32_dpp v196, v12, v196 row_newbcast:0 row_mask:0xf bank_mask:0xf// 000000005C28: 0B8988FA FF01500C
	v_mul_f32_dpp v197, v12, v197 row_newbcast:1 row_mask:0xf bank_mask:0xf// 000000005C30: 0B8B8AFA FF01510C
	v_mul_f32_dpp v198, v12, v198 row_newbcast:2 row_mask:0xf bank_mask:0xf// 000000005C38: 0B8D8CFA FF01520C
	v_mul_f32_dpp v199, v12, v199 row_newbcast:3 row_mask:0xf bank_mask:0xf// 000000005C40: 0B8F8EFA FF01530C
	v_mul_f32_e32 v196, v18, v196                              // 000000005C48: 0B898912
	v_mul_f32_e32 v197, v18, v197                              // 000000005C4C: 0B8B8B12
	v_mul_f32_e32 v198, v18, v198                              // 000000005C50: 0B8D8D12
	v_mul_f32_e32 v199, v18, v199                              // 000000005C54: 0B8F8F12
	v_cvt_f32_i32_e32 v200, v200                               // 000000005C58: 7F900BC8
	v_cvt_f32_i32_e32 v201, v201                               // 000000005C5C: 7F920BC9
	v_cvt_f32_i32_e32 v202, v202                               // 000000005C60: 7F940BCA
	v_cvt_f32_i32_e32 v203, v203                               // 000000005C64: 7F960BCB
	v_mul_f32_e32 v200, v22, v200                              // 000000005C68: 0B919116
	v_mul_f32_e32 v201, v22, v201                              // 000000005C6C: 0B939316
	v_mul_f32_e32 v202, v22, v202                              // 000000005C70: 0B959516
	v_mul_f32_e32 v203, v22, v203                              // 000000005C74: 0B979716
	v_mul_f32_dpp v200, v12, v200 row_newbcast:4 row_mask:0xf bank_mask:0xf// 000000005C78: 0B9190FA FF01540C
	v_mul_f32_dpp v201, v12, v201 row_newbcast:5 row_mask:0xf bank_mask:0xf// 000000005C80: 0B9392FA FF01550C
	v_mul_f32_dpp v202, v12, v202 row_newbcast:6 row_mask:0xf bank_mask:0xf// 000000005C88: 0B9594FA FF01560C
	v_mul_f32_dpp v203, v12, v203 row_newbcast:7 row_mask:0xf bank_mask:0xf// 000000005C90: 0B9796FA FF01570C
	v_mul_f32_e32 v200, v17, v200                              // 000000005C98: 0B919111
	v_mul_f32_e32 v201, v17, v201                              // 000000005C9C: 0B939311
	v_mul_f32_e32 v202, v17, v202                              // 000000005CA0: 0B959511
	v_mul_f32_e32 v203, v17, v203                              // 000000005CA4: 0B979711
	v_cvt_f32_i32_e32 v204, v204                               // 000000005CA8: 7F980BCC
	v_cvt_f32_i32_e32 v205, v205                               // 000000005CAC: 7F9A0BCD
	v_cvt_f32_i32_e32 v206, v206                               // 000000005CB0: 7F9C0BCE
	v_cvt_f32_i32_e32 v207, v207                               // 000000005CB4: 7F9E0BCF
	v_mul_f32_e32 v204, v23, v204                              // 000000005CB8: 0B999917
	v_mul_f32_e32 v205, v23, v205                              // 000000005CBC: 0B9B9B17
	v_mul_f32_e32 v206, v23, v206                              // 000000005CC0: 0B9D9D17
	v_mul_f32_e32 v207, v23, v207                              // 000000005CC4: 0B9F9F17
	v_mul_f32_dpp v204, v12, v204 row_newbcast:4 row_mask:0xf bank_mask:0xf// 000000005CC8: 0B9998FA FF01540C
	v_mul_f32_dpp v205, v12, v205 row_newbcast:5 row_mask:0xf bank_mask:0xf// 000000005CD0: 0B9B9AFA FF01550C
	v_mul_f32_dpp v206, v12, v206 row_newbcast:6 row_mask:0xf bank_mask:0xf// 000000005CD8: 0B9D9CFA FF01560C
	v_mul_f32_dpp v207, v12, v207 row_newbcast:7 row_mask:0xf bank_mask:0xf// 000000005CE0: 0B9F9EFA FF01570C
	v_mul_f32_e32 v204, v18, v204                              // 000000005CE8: 0B999912
	v_mul_f32_e32 v205, v18, v205                              // 000000005CEC: 0B9B9B12
	v_mul_f32_e32 v206, v18, v206                              // 000000005CF0: 0B9D9D12
	v_mul_f32_e32 v207, v18, v207                              // 000000005CF4: 0B9F9F12
	v_cvt_f32_i32_e32 v208, v208                               // 000000005CF8: 7FA00BD0
	v_cvt_f32_i32_e32 v209, v209                               // 000000005CFC: 7FA20BD1
	v_cvt_f32_i32_e32 v210, v210                               // 000000005D00: 7FA40BD2
	v_cvt_f32_i32_e32 v211, v211                               // 000000005D04: 7FA60BD3
	v_mul_f32_e32 v208, v22, v208                              // 000000005D08: 0BA1A116
	v_mul_f32_e32 v209, v22, v209                              // 000000005D0C: 0BA3A316
	v_mul_f32_e32 v210, v22, v210                              // 000000005D10: 0BA5A516
	v_mul_f32_e32 v211, v22, v211                              // 000000005D14: 0BA7A716
	v_mul_f32_dpp v208, v12, v208 row_newbcast:8 row_mask:0xf bank_mask:0xf// 000000005D18: 0BA1A0FA FF01580C
	v_mul_f32_dpp v209, v12, v209 row_newbcast:9 row_mask:0xf bank_mask:0xf// 000000005D20: 0BA3A2FA FF01590C
	v_mul_f32_dpp v210, v12, v210 row_newbcast:10 row_mask:0xf bank_mask:0xf// 000000005D28: 0BA5A4FA FF015A0C
	v_mul_f32_dpp v211, v12, v211 row_newbcast:11 row_mask:0xf bank_mask:0xf// 000000005D30: 0BA7A6FA FF015B0C
	v_mul_f32_e32 v208, v17, v208                              // 000000005D38: 0BA1A111
	v_mul_f32_e32 v209, v17, v209                              // 000000005D3C: 0BA3A311
	v_mul_f32_e32 v210, v17, v210                              // 000000005D40: 0BA5A511
	v_mul_f32_e32 v211, v17, v211                              // 000000005D44: 0BA7A711
	v_cvt_f32_i32_e32 v212, v212                               // 000000005D48: 7FA80BD4
	v_cvt_f32_i32_e32 v213, v213                               // 000000005D4C: 7FAA0BD5
	v_cvt_f32_i32_e32 v214, v214                               // 000000005D50: 7FAC0BD6
	v_cvt_f32_i32_e32 v215, v215                               // 000000005D54: 7FAE0BD7
	v_mul_f32_e32 v212, v23, v212                              // 000000005D58: 0BA9A917
	v_mul_f32_e32 v213, v23, v213                              // 000000005D5C: 0BABAB17
	v_mul_f32_e32 v214, v23, v214                              // 000000005D60: 0BADAD17
	v_mul_f32_e32 v215, v23, v215                              // 000000005D64: 0BAFAF17
	v_mul_f32_dpp v212, v12, v212 row_newbcast:8 row_mask:0xf bank_mask:0xf// 000000005D68: 0BA9A8FA FF01580C
	v_mul_f32_dpp v213, v12, v213 row_newbcast:9 row_mask:0xf bank_mask:0xf// 000000005D70: 0BABAAFA FF01590C
	v_mul_f32_dpp v214, v12, v214 row_newbcast:10 row_mask:0xf bank_mask:0xf// 000000005D78: 0BADACFA FF015A0C
	v_mul_f32_dpp v215, v12, v215 row_newbcast:11 row_mask:0xf bank_mask:0xf// 000000005D80: 0BAFAEFA FF015B0C
	v_mul_f32_e32 v212, v18, v212                              // 000000005D88: 0BA9A912
	v_mul_f32_e32 v213, v18, v213                              // 000000005D8C: 0BABAB12
	v_mul_f32_e32 v214, v18, v214                              // 000000005D90: 0BADAD12
	v_mul_f32_e32 v215, v18, v215                              // 000000005D94: 0BAFAF12
	v_cvt_f32_i32_e32 v216, v216                               // 000000005D98: 7FB00BD8
	v_cvt_f32_i32_e32 v217, v217                               // 000000005D9C: 7FB20BD9
	v_cvt_f32_i32_e32 v218, v218                               // 000000005DA0: 7FB40BDA
	v_cvt_f32_i32_e32 v219, v219                               // 000000005DA4: 7FB60BDB
	v_mul_f32_e32 v216, v22, v216                              // 000000005DA8: 0BB1B116
	v_mul_f32_e32 v217, v22, v217                              // 000000005DAC: 0BB3B316
	v_mul_f32_e32 v218, v22, v218                              // 000000005DB0: 0BB5B516
	v_mul_f32_e32 v219, v22, v219                              // 000000005DB4: 0BB7B716
	v_mul_f32_dpp v216, v12, v216 row_newbcast:12 row_mask:0xf bank_mask:0xf// 000000005DB8: 0BB1B0FA FF015C0C
	v_mul_f32_dpp v217, v12, v217 row_newbcast:13 row_mask:0xf bank_mask:0xf// 000000005DC0: 0BB3B2FA FF015D0C
	v_mul_f32_dpp v218, v12, v218 row_newbcast:14 row_mask:0xf bank_mask:0xf// 000000005DC8: 0BB5B4FA FF015E0C
	v_mul_f32_dpp v219, v12, v219 row_newbcast:15 row_mask:0xf bank_mask:0xf// 000000005DD0: 0BB7B6FA FF015F0C
	v_mul_f32_e32 v216, v17, v216                              // 000000005DD8: 0BB1B111
	v_mul_f32_e32 v217, v17, v217                              // 000000005DDC: 0BB3B311
	v_mul_f32_e32 v218, v17, v218                              // 000000005DE0: 0BB5B511
	v_mul_f32_e32 v219, v17, v219                              // 000000005DE4: 0BB7B711
	v_cvt_f32_i32_e32 v220, v220                               // 000000005DE8: 7FB80BDC
	v_cvt_f32_i32_e32 v221, v221                               // 000000005DEC: 7FBA0BDD
	v_cvt_f32_i32_e32 v222, v222                               // 000000005DF0: 7FBC0BDE
	v_cvt_f32_i32_e32 v223, v223                               // 000000005DF4: 7FBE0BDF
	v_mul_f32_e32 v220, v23, v220                              // 000000005DF8: 0BB9B917
	v_mul_f32_e32 v221, v23, v221                              // 000000005DFC: 0BBBBB17
	v_mul_f32_e32 v222, v23, v222                              // 000000005E00: 0BBDBD17
	v_mul_f32_e32 v223, v23, v223                              // 000000005E04: 0BBFBF17
	v_mul_f32_dpp v220, v12, v220 row_newbcast:12 row_mask:0xf bank_mask:0xf// 000000005E08: 0BB9B8FA FF015C0C
	v_mul_f32_dpp v221, v12, v221 row_newbcast:13 row_mask:0xf bank_mask:0xf// 000000005E10: 0BBBBAFA FF015D0C
	v_mul_f32_dpp v222, v12, v222 row_newbcast:14 row_mask:0xf bank_mask:0xf// 000000005E18: 0BBDBCFA FF015E0C
	v_mul_f32_dpp v223, v12, v223 row_newbcast:15 row_mask:0xf bank_mask:0xf// 000000005E20: 0BBFBEFA FF015F0C
	v_mul_f32_e32 v220, v18, v220                              // 000000005E28: 0BB9B912
	v_mul_f32_e32 v221, v18, v221                              // 000000005E2C: 0BBBBB12
	v_mul_f32_e32 v222, v18, v222                              // 000000005E30: 0BBDBD12
	v_mul_f32_e32 v223, v18, v223                              // 000000005E34: 0BBFBF12
	v_cmp_u_f32_e64 s[48:49], v192, v192                       // 000000005E38: D0480030 000381C0
	v_add3_u32 v40, v192, v43, 1                               // 000000005E40: D1FF0028 020657C0
	v_cndmask_b32_e64 v44, v40, v42, s[48:49]                  // 000000005E48: D100002C 00C25528
	v_cmp_u_f32_e64 s[48:49], v193, v193                       // 000000005E50: D0480030 000383C1
	v_add3_u32 v40, v193, v43, 1                               // 000000005E58: D1FF0028 020657C1
	v_cndmask_b32_e64 v45, v40, v42, s[48:49]                  // 000000005E60: D100002D 00C25528
	v_perm_b32 v192, v45, v44, s52                             // 000000005E68: D1ED00C0 00D2592D
	v_cmp_u_f32_e64 s[48:49], v194, v194                       // 000000005E70: D0480030 000385C2
	v_add3_u32 v40, v194, v43, 1                               // 000000005E78: D1FF0028 020657C2
	v_cndmask_b32_e64 v44, v40, v42, s[48:49]                  // 000000005E80: D100002C 00C25528
	v_cmp_u_f32_e64 s[48:49], v195, v195                       // 000000005E88: D0480030 000387C3
	v_add3_u32 v40, v195, v43, 1                               // 000000005E90: D1FF0028 020657C3
	v_cndmask_b32_e64 v45, v40, v42, s[48:49]                  // 000000005E98: D100002D 00C25528
	v_perm_b32 v193, v45, v44, s52                             // 000000005EA0: D1ED00C1 00D2592D
	v_cmp_u_f32_e64 s[48:49], v196, v196                       // 000000005EA8: D0480030 000389C4
	v_add3_u32 v40, v196, v43, 1                               // 000000005EB0: D1FF0028 020657C4
	v_cndmask_b32_e64 v44, v40, v42, s[48:49]                  // 000000005EB8: D100002C 00C25528
	v_cmp_u_f32_e64 s[48:49], v197, v197                       // 000000005EC0: D0480030 00038BC5
	v_add3_u32 v40, v197, v43, 1                               // 000000005EC8: D1FF0028 020657C5
	v_cndmask_b32_e64 v45, v40, v42, s[48:49]                  // 000000005ED0: D100002D 00C25528
	v_perm_b32 v194, v45, v44, s52                             // 000000005ED8: D1ED00C2 00D2592D
	v_cmp_u_f32_e64 s[48:49], v198, v198                       // 000000005EE0: D0480030 00038DC6
	v_add3_u32 v40, v198, v43, 1                               // 000000005EE8: D1FF0028 020657C6
	v_cndmask_b32_e64 v44, v40, v42, s[48:49]                  // 000000005EF0: D100002C 00C25528
	v_cmp_u_f32_e64 s[48:49], v199, v199                       // 000000005EF8: D0480030 00038FC7
	v_add3_u32 v40, v199, v43, 1                               // 000000005F00: D1FF0028 020657C7
	v_cndmask_b32_e64 v45, v40, v42, s[48:49]                  // 000000005F08: D100002D 00C25528
	v_perm_b32 v195, v45, v44, s52                             // 000000005F10: D1ED00C3 00D2592D
	v_cmp_u_f32_e64 s[48:49], v200, v200                       // 000000005F18: D0480030 000391C8
	v_add3_u32 v40, v200, v43, 1                               // 000000005F20: D1FF0028 020657C8
	v_cndmask_b32_e64 v44, v40, v42, s[48:49]                  // 000000005F28: D100002C 00C25528
	v_cmp_u_f32_e64 s[48:49], v201, v201                       // 000000005F30: D0480030 000393C9
	v_add3_u32 v40, v201, v43, 1                               // 000000005F38: D1FF0028 020657C9
	v_cndmask_b32_e64 v45, v40, v42, s[48:49]                  // 000000005F40: D100002D 00C25528
	v_perm_b32 v196, v45, v44, s52                             // 000000005F48: D1ED00C4 00D2592D
	v_cmp_u_f32_e64 s[48:49], v202, v202                       // 000000005F50: D0480030 000395CA
	v_add3_u32 v40, v202, v43, 1                               // 000000005F58: D1FF0028 020657CA
	v_cndmask_b32_e64 v44, v40, v42, s[48:49]                  // 000000005F60: D100002C 00C25528
	v_cmp_u_f32_e64 s[48:49], v203, v203                       // 000000005F68: D0480030 000397CB
	v_add3_u32 v40, v203, v43, 1                               // 000000005F70: D1FF0028 020657CB
	v_cndmask_b32_e64 v45, v40, v42, s[48:49]                  // 000000005F78: D100002D 00C25528
	v_perm_b32 v197, v45, v44, s52                             // 000000005F80: D1ED00C5 00D2592D
	v_cmp_u_f32_e64 s[48:49], v204, v204                       // 000000005F88: D0480030 000399CC
	v_add3_u32 v40, v204, v43, 1                               // 000000005F90: D1FF0028 020657CC
	v_cndmask_b32_e64 v44, v40, v42, s[48:49]                  // 000000005F98: D100002C 00C25528
	v_cmp_u_f32_e64 s[48:49], v205, v205                       // 000000005FA0: D0480030 00039BCD
	v_add3_u32 v40, v205, v43, 1                               // 000000005FA8: D1FF0028 020657CD
	v_cndmask_b32_e64 v45, v40, v42, s[48:49]                  // 000000005FB0: D100002D 00C25528
	v_perm_b32 v198, v45, v44, s52                             // 000000005FB8: D1ED00C6 00D2592D
	v_cmp_u_f32_e64 s[48:49], v206, v206                       // 000000005FC0: D0480030 00039DCE
	v_add3_u32 v40, v206, v43, 1                               // 000000005FC8: D1FF0028 020657CE
	v_cndmask_b32_e64 v44, v40, v42, s[48:49]                  // 000000005FD0: D100002C 00C25528
	v_cmp_u_f32_e64 s[48:49], v207, v207                       // 000000005FD8: D0480030 00039FCF
	v_add3_u32 v40, v207, v43, 1                               // 000000005FE0: D1FF0028 020657CF
	v_cndmask_b32_e64 v45, v40, v42, s[48:49]                  // 000000005FE8: D100002D 00C25528
	v_perm_b32 v199, v45, v44, s52                             // 000000005FF0: D1ED00C7 00D2592D
	v_cmp_u_f32_e64 s[48:49], v208, v208                       // 000000005FF8: D0480030 0003A1D0
	v_add3_u32 v40, v208, v43, 1                               // 000000006000: D1FF0028 020657D0
	v_cndmask_b32_e64 v44, v40, v42, s[48:49]                  // 000000006008: D100002C 00C25528
	v_cmp_u_f32_e64 s[48:49], v209, v209                       // 000000006010: D0480030 0003A3D1
	v_add3_u32 v40, v209, v43, 1                               // 000000006018: D1FF0028 020657D1
	v_cndmask_b32_e64 v45, v40, v42, s[48:49]                  // 000000006020: D100002D 00C25528
	v_perm_b32 v200, v45, v44, s52                             // 000000006028: D1ED00C8 00D2592D
	v_cmp_u_f32_e64 s[48:49], v210, v210                       // 000000006030: D0480030 0003A5D2
	v_add3_u32 v40, v210, v43, 1                               // 000000006038: D1FF0028 020657D2
	v_cndmask_b32_e64 v44, v40, v42, s[48:49]                  // 000000006040: D100002C 00C25528
	v_cmp_u_f32_e64 s[48:49], v211, v211                       // 000000006048: D0480030 0003A7D3
	v_add3_u32 v40, v211, v43, 1                               // 000000006050: D1FF0028 020657D3
	v_cndmask_b32_e64 v45, v40, v42, s[48:49]                  // 000000006058: D100002D 00C25528
	v_perm_b32 v201, v45, v44, s52                             // 000000006060: D1ED00C9 00D2592D
	v_cmp_u_f32_e64 s[48:49], v212, v212                       // 000000006068: D0480030 0003A9D4
	v_add3_u32 v40, v212, v43, 1                               // 000000006070: D1FF0028 020657D4
	v_cndmask_b32_e64 v44, v40, v42, s[48:49]                  // 000000006078: D100002C 00C25528
	v_cmp_u_f32_e64 s[48:49], v213, v213                       // 000000006080: D0480030 0003ABD5
	v_add3_u32 v40, v213, v43, 1                               // 000000006088: D1FF0028 020657D5
	v_cndmask_b32_e64 v45, v40, v42, s[48:49]                  // 000000006090: D100002D 00C25528
	v_perm_b32 v202, v45, v44, s52                             // 000000006098: D1ED00CA 00D2592D
	v_cmp_u_f32_e64 s[48:49], v214, v214                       // 0000000060A0: D0480030 0003ADD6
	v_add3_u32 v40, v214, v43, 1                               // 0000000060A8: D1FF0028 020657D6
	v_cndmask_b32_e64 v44, v40, v42, s[48:49]                  // 0000000060B0: D100002C 00C25528
	v_cmp_u_f32_e64 s[48:49], v215, v215                       // 0000000060B8: D0480030 0003AFD7
	v_add3_u32 v40, v215, v43, 1                               // 0000000060C0: D1FF0028 020657D7
	v_cndmask_b32_e64 v45, v40, v42, s[48:49]                  // 0000000060C8: D100002D 00C25528
	v_perm_b32 v203, v45, v44, s52                             // 0000000060D0: D1ED00CB 00D2592D
	v_cmp_u_f32_e64 s[48:49], v216, v216                       // 0000000060D8: D0480030 0003B1D8
	v_add3_u32 v40, v216, v43, 1                               // 0000000060E0: D1FF0028 020657D8
	v_cndmask_b32_e64 v44, v40, v42, s[48:49]                  // 0000000060E8: D100002C 00C25528
	v_cmp_u_f32_e64 s[48:49], v217, v217                       // 0000000060F0: D0480030 0003B3D9
	v_add3_u32 v40, v217, v43, 1                               // 0000000060F8: D1FF0028 020657D9
	v_cndmask_b32_e64 v45, v40, v42, s[48:49]                  // 000000006100: D100002D 00C25528
	v_perm_b32 v204, v45, v44, s52                             // 000000006108: D1ED00CC 00D2592D
	v_cmp_u_f32_e64 s[48:49], v218, v218                       // 000000006110: D0480030 0003B5DA
	v_add3_u32 v40, v218, v43, 1                               // 000000006118: D1FF0028 020657DA
	v_cndmask_b32_e64 v44, v40, v42, s[48:49]                  // 000000006120: D100002C 00C25528
	v_cmp_u_f32_e64 s[48:49], v219, v219                       // 000000006128: D0480030 0003B7DB
	v_add3_u32 v40, v219, v43, 1                               // 000000006130: D1FF0028 020657DB
	v_cndmask_b32_e64 v45, v40, v42, s[48:49]                  // 000000006138: D100002D 00C25528
	v_perm_b32 v205, v45, v44, s52                             // 000000006140: D1ED00CD 00D2592D
	v_cmp_u_f32_e64 s[48:49], v220, v220                       // 000000006148: D0480030 0003B9DC
	v_add3_u32 v40, v220, v43, 1                               // 000000006150: D1FF0028 020657DC
	v_cndmask_b32_e64 v44, v40, v42, s[48:49]                  // 000000006158: D100002C 00C25528
	v_cmp_u_f32_e64 s[48:49], v221, v221                       // 000000006160: D0480030 0003BBDD
	v_add3_u32 v40, v221, v43, 1                               // 000000006168: D1FF0028 020657DD
	v_cndmask_b32_e64 v45, v40, v42, s[48:49]                  // 000000006170: D100002D 00C25528
	v_perm_b32 v206, v45, v44, s52                             // 000000006178: D1ED00CE 00D2592D
	v_cmp_u_f32_e64 s[48:49], v222, v222                       // 000000006180: D0480030 0003BDDE
	v_add3_u32 v40, v222, v43, 1                               // 000000006188: D1FF0028 020657DE
	v_cndmask_b32_e64 v44, v40, v42, s[48:49]                  // 000000006190: D100002C 00C25528
	v_cmp_u_f32_e64 s[48:49], v223, v223                       // 000000006198: D0480030 0003BFDF
	v_add3_u32 v40, v223, v43, 1                               // 0000000061A0: D1FF0028 020657DF
	v_cndmask_b32_e64 v45, v40, v42, s[48:49]                  // 0000000061A8: D100002D 00C25528
	v_perm_b32 v207, v45, v44, s52                             // 0000000061B0: D1ED00CF 00D2592D
	ds_write_b64 v3, v[192:193] offset:26880                   // 0000000061B8: D89A6900 0000C003
	ds_write_b64 v3, v[194:195] offset:35584                   // 0000000061C0: D89A8B00 0000C203
	ds_write_b64 v3, v[196:197] offset:29056                   // 0000000061C8: D89A7180 0000C403
	ds_write_b64 v3, v[198:199] offset:37760                   // 0000000061D0: D89A9380 0000C603
	ds_write_b64 v3, v[200:201] offset:31232                   // 0000000061D8: D89A7A00 0000C803
	ds_write_b64 v3, v[202:203] offset:39936                   // 0000000061E0: D89A9C00 0000CA03
	ds_write_b64 v3, v[204:205] offset:33408                   // 0000000061E8: D89A8280 0000CC03
	ds_write_b64 v3, v[206:207] offset:42112                   // 0000000061F0: D89AA480 0000CE03
	s_waitcnt lgkmcnt(0)                                       // 0000000061F8: BF8CC07F
	s_barrier                                                  // 0000000061FC: BF8A0000
	ds_read_b32 v64, v4 offset:26880                           // 000000006200: D86C6900 40000004
	ds_read_b32 v65, v4 offset:31232                           // 000000006208: D86C7A00 41000004
	ds_read_b32 v66, v4 offset:26912                           // 000000006210: D86C6920 42000004
	ds_read_b32 v67, v4 offset:31264                           // 000000006218: D86C7A20 43000004
	ds_read_b32 v68, v4 offset:26944                           // 000000006220: D86C6940 44000004
	ds_read_b32 v69, v4 offset:31296                           // 000000006228: D86C7A40 45000004
	ds_read_b32 v70, v4 offset:26976                           // 000000006230: D86C6960 46000004
	ds_read_b32 v71, v4 offset:31328                           // 000000006238: D86C7A60 47000004
	ds_read_b32 v72, v4 offset:35584                           // 000000006240: D86C8B00 48000004
	ds_read_b32 v73, v4 offset:39936                           // 000000006248: D86C9C00 49000004
	ds_read_b32 v74, v4 offset:35616                           // 000000006250: D86C8B20 4A000004
	ds_read_b32 v75, v4 offset:39968                           // 000000006258: D86C9C20 4B000004
	ds_read_b32 v76, v4 offset:35648                           // 000000006260: D86C8B40 4C000004
	ds_read_b32 v77, v4 offset:40000                           // 000000006268: D86C9C40 4D000004
	ds_read_b32 v78, v4 offset:35680                           // 000000006270: D86C8B60 4E000004
	ds_read_b32 v79, v4 offset:40032                           // 000000006278: D86C9C60 4F000004
	s_waitcnt lgkmcnt(0)                                       // 000000006280: BF8CC07F
	s_mov_b64 exec, s[20:21]                                   // 000000006284: BEFE0114
	global_atomic_pk_add_bf16 v80, v64, s[8:9]                 // 000000006288: DD488000 00084050
	s_mov_b64 exec, s[36:37]                                   // 000000006290: BEFE0124
	s_mov_b64 exec, s[20:21]                                   // 000000006294: BEFE0114
	global_atomic_pk_add_bf16 v80, v65, s[8:9] offset:256      // 000000006298: DD488100 00084150
	s_mov_b64 exec, s[36:37]                                   // 0000000062A0: BEFE0124
	s_mov_b64 exec, s[22:23]                                   // 0000000062A4: BEFE0116
	global_atomic_pk_add_bf16 v82, v66, s[8:9]                 // 0000000062A8: DD488000 00084252
	s_mov_b64 exec, s[36:37]                                   // 0000000062B0: BEFE0124
	s_mov_b64 exec, s[22:23]                                   // 0000000062B4: BEFE0116
	global_atomic_pk_add_bf16 v82, v67, s[8:9] offset:256      // 0000000062B8: DD488100 00084352
	s_mov_b64 exec, s[36:37]                                   // 0000000062C0: BEFE0124
	s_mov_b64 exec, s[24:25]                                   // 0000000062C4: BEFE0118
	global_atomic_pk_add_bf16 v84, v68, s[8:9]                 // 0000000062C8: DD488000 00084454
	s_mov_b64 exec, s[36:37]                                   // 0000000062D0: BEFE0124
	s_mov_b64 exec, s[24:25]                                   // 0000000062D4: BEFE0118
	global_atomic_pk_add_bf16 v84, v69, s[8:9] offset:256      // 0000000062D8: DD488100 00084554
	s_mov_b64 exec, s[36:37]                                   // 0000000062E0: BEFE0124
	s_mov_b64 exec, s[26:27]                                   // 0000000062E4: BEFE011A
	global_atomic_pk_add_bf16 v86, v70, s[8:9]                 // 0000000062E8: DD488000 00084656
	s_mov_b64 exec, s[36:37]                                   // 0000000062F0: BEFE0124
	s_mov_b64 exec, s[26:27]                                   // 0000000062F4: BEFE011A
	global_atomic_pk_add_bf16 v86, v71, s[8:9] offset:256      // 0000000062F8: DD488100 00084756
	s_mov_b64 exec, s[36:37]                                   // 000000006300: BEFE0124
	s_mov_b64 exec, s[28:29]                                   // 000000006304: BEFE011C
	global_atomic_pk_add_bf16 v88, v72, s[8:9]                 // 000000006308: DD488000 00084858
	s_mov_b64 exec, s[36:37]                                   // 000000006310: BEFE0124
	s_mov_b64 exec, s[28:29]                                   // 000000006314: BEFE011C
	global_atomic_pk_add_bf16 v88, v73, s[8:9] offset:256      // 000000006318: DD488100 00084958
	s_mov_b64 exec, s[36:37]                                   // 000000006320: BEFE0124
	s_mov_b64 exec, s[30:31]                                   // 000000006324: BEFE011E
	global_atomic_pk_add_bf16 v90, v74, s[8:9]                 // 000000006328: DD488000 00084A5A
	s_mov_b64 exec, s[36:37]                                   // 000000006330: BEFE0124
	s_mov_b64 exec, s[30:31]                                   // 000000006334: BEFE011E
	global_atomic_pk_add_bf16 v90, v75, s[8:9] offset:256      // 000000006338: DD488100 00084B5A
	s_mov_b64 exec, s[36:37]                                   // 000000006340: BEFE0124
	s_mov_b64 exec, s[32:33]                                   // 000000006344: BEFE0120
	global_atomic_pk_add_bf16 v92, v76, s[8:9]                 // 000000006348: DD488000 00084C5C
	s_mov_b64 exec, s[36:37]                                   // 000000006350: BEFE0124
	s_mov_b64 exec, s[32:33]                                   // 000000006354: BEFE0120
	global_atomic_pk_add_bf16 v92, v77, s[8:9] offset:256      // 000000006358: DD488100 00084D5C
	s_mov_b64 exec, s[36:37]                                   // 000000006360: BEFE0124
	s_mov_b64 exec, s[34:35]                                   // 000000006364: BEFE0122
	global_atomic_pk_add_bf16 v94, v78, s[8:9]                 // 000000006368: DD488000 00084E5E
	s_mov_b64 exec, s[36:37]                                   // 000000006370: BEFE0124
	s_mov_b64 exec, s[34:35]                                   // 000000006374: BEFE0122
	global_atomic_pk_add_bf16 v94, v79, s[8:9] offset:256      // 000000006378: DD488100 00084F5E
	s_mov_b64 exec, s[36:37]                                   // 000000006380: BEFE0124
	s_add_u32 s8, s59, s8                                      // 000000006384: 8008083B
	s_addc_u32 s9, 0, s9                                       // 000000006388: 82090980
	s_addk_i32 s80, 0x100                                      // 00000000638C: B7500100
	s_cmp_lt_i32 s80, s81                                      // 000000006390: BF045150
	s_cbranch_scc0 label_0D67                                  // 000000006394: BF840001
	s_branch label_0808                                        // 000000006398: BF82FAA1

000000000000639c <label_0D67>:
	s_nop 0                                                    // 00000000639C: BF800000
	s_nop 0                                                    // 0000000063A0: BF800000
	s_branch label_181F                                        // 0000000063A4: BF820AB5

00000000000063a8 <label_0D6A>:
	s_waitcnt vmcnt(8) lgkmcnt(0)                              // 0000000063A8: BF8C0078
	s_barrier                                                  // 0000000063AC: BF8A0000
	v_mfma_i32_16x16x32_i8 v[128:131], a[0:1], v[160:161], v[128:131]// 0000000063B0: D3D70080 0E034100
	buffer_load_dwordx4 a[64:67], v32, s[24:27], 0 offen       // 0000000063B8: E05C1000 80864020
	v_mfma_i32_16x16x32_i8 v[128:131], a[2:3], v[162:163], v[128:131]// 0000000063C0: D3D70080 0E034502
	v_mfma_i32_16x16x32_i8 v[128:131], a[4:5], v[164:165], v[128:131]// 0000000063C8: D3D70080 0E034904
	buffer_load_dword v24, s[20:23], 0 offen lds               // 0000000063D0: E0511000 80050018
	s_add_u32 m0, 0x100, s50                                   // 0000000063D8: 807C32FF 00000100
	v_mfma_i32_16x16x32_i8 v[128:131], a[6:7], v[166:167], v[128:131]// 0000000063E0: D3D70080 0E034D06
	v_mfma_i32_16x16x32_i8 v[128:131], a[8:9], v[168:169], v[128:131]// 0000000063E8: D3D70080 0E035108
	buffer_load_dwordx4 a[68:71], v32, s[24:27], 0 offen offset:1024// 0000000063F0: E05C1400 80864420
	v_mfma_i32_16x16x32_i8 v[128:131], a[10:11], v[170:171], v[128:131]// 0000000063F8: D3D70080 0E03550A
	v_mfma_i32_16x16x32_i8 v[128:131], a[12:13], v[172:173], v[128:131]// 000000006400: D3D70080 0E03590C
	buffer_load_dword v25, s[20:23], 0 offen lds               // 000000006408: E0511000 80050019
	s_add_u32 m0, 0x200, s50                                   // 000000006410: 807C32FF 00000200
	v_mfma_i32_16x16x32_i8 v[128:131], a[14:15], v[174:175], v[128:131]// 000000006418: D3D70080 0E035D0E
	v_mfma_i32_16x16x32_i8 v[132:135], a[0:1], v[176:177], v[132:135]// 000000006420: D3D70084 0E136100
	buffer_load_dwordx4 a[72:75], v32, s[24:27], 0 offen offset:2048// 000000006428: E05C1800 80864820
	v_mfma_i32_16x16x32_i8 v[132:135], a[2:3], v[178:179], v[132:135]// 000000006430: D3D70084 0E136502
	v_mfma_i32_16x16x32_i8 v[132:135], a[4:5], v[180:181], v[132:135]// 000000006438: D3D70084 0E136904
	buffer_load_dword v26, s[20:23], 0 offen lds               // 000000006440: E0511000 8005001A
	s_add_u32 m0, 0x300, s50                                   // 000000006448: 807C32FF 00000300
	v_mfma_i32_16x16x32_i8 v[132:135], a[6:7], v[182:183], v[132:135]// 000000006450: D3D70084 0E136D06
	v_mfma_i32_16x16x32_i8 v[132:135], a[8:9], v[184:185], v[132:135]// 000000006458: D3D70084 0E137108
	buffer_load_dwordx4 a[76:79], v32, s[24:27], 0 offen offset:3072// 000000006460: E05C1C00 80864C20
	v_mfma_i32_16x16x32_i8 v[132:135], a[10:11], v[186:187], v[132:135]// 000000006468: D3D70084 0E13750A
	v_mfma_i32_16x16x32_i8 v[132:135], a[12:13], v[188:189], v[132:135]// 000000006470: D3D70084 0E13790C
	buffer_load_dword v27, s[20:23], 0 offen lds               // 000000006478: E0511000 8005001B
	s_add_u32 m0, 0x400, s50                                   // 000000006480: 807C32FF 00000400
	v_mfma_i32_16x16x32_i8 v[132:135], a[14:15], v[190:191], v[132:135]// 000000006488: D3D70084 0E137D0E
	v_mfma_i32_16x16x32_i8 v[136:139], a[16:17], v[160:161], v[136:139]// 000000006490: D3D70088 0E234110
	buffer_load_dwordx4 a[80:83], v33, s[24:27], 0 offen       // 000000006498: E05C1000 80865021
	v_mfma_i32_16x16x32_i8 v[136:139], a[18:19], v[162:163], v[136:139]// 0000000064A0: D3D70088 0E234512
	v_mfma_i32_16x16x32_i8 v[136:139], a[20:21], v[164:165], v[136:139]// 0000000064A8: D3D70088 0E234914
	buffer_load_dword v28, s[20:23], 0 offen lds               // 0000000064B0: E0511000 8005001C
	s_add_u32 m0, 0x500, s50                                   // 0000000064B8: 807C32FF 00000500
	v_mfma_i32_16x16x32_i8 v[136:139], a[22:23], v[166:167], v[136:139]// 0000000064C0: D3D70088 0E234D16
	v_mfma_i32_16x16x32_i8 v[136:139], a[24:25], v[168:169], v[136:139]// 0000000064C8: D3D70088 0E235118
	buffer_load_dwordx4 a[84:87], v33, s[24:27], 0 offen offset:1024// 0000000064D0: E05C1400 80865421
	v_mfma_i32_16x16x32_i8 v[136:139], a[26:27], v[170:171], v[136:139]// 0000000064D8: D3D70088 0E23551A
	v_mfma_i32_16x16x32_i8 v[136:139], a[28:29], v[172:173], v[136:139]// 0000000064E0: D3D70088 0E23591C
	buffer_load_dword v29, s[20:23], 0 offen lds               // 0000000064E8: E0511000 8005001D
	s_add_u32 m0, 0x600, s50                                   // 0000000064F0: 807C32FF 00000600
	v_mfma_i32_16x16x32_i8 v[136:139], a[30:31], v[174:175], v[136:139]// 0000000064F8: D3D70088 0E235D1E
	v_mfma_i32_16x16x32_i8 v[140:143], a[16:17], v[176:177], v[140:143]// 000000006500: D3D7008C 0E336110
	buffer_load_dwordx4 a[88:91], v33, s[24:27], 0 offen offset:2048// 000000006508: E05C1800 80865821
	v_mfma_i32_16x16x32_i8 v[140:143], a[18:19], v[178:179], v[140:143]// 000000006510: D3D7008C 0E336512
	v_mfma_i32_16x16x32_i8 v[140:143], a[20:21], v[180:181], v[140:143]// 000000006518: D3D7008C 0E336914
	buffer_load_dword v30, s[20:23], 0 offen lds               // 000000006520: E0511000 8005001E
	s_add_u32 m0, 0x700, s50                                   // 000000006528: 807C32FF 00000700
	v_mfma_i32_16x16x32_i8 v[140:143], a[22:23], v[182:183], v[140:143]// 000000006530: D3D7008C 0E336D16
	v_mfma_i32_16x16x32_i8 v[140:143], a[24:25], v[184:185], v[140:143]// 000000006538: D3D7008C 0E337118
	buffer_load_dwordx4 a[92:95], v33, s[24:27], 0 offen offset:3072// 000000006540: E05C1C00 80865C21
	v_mfma_i32_16x16x32_i8 v[140:143], a[26:27], v[186:187], v[140:143]// 000000006548: D3D7008C 0E33751A
	v_mfma_i32_16x16x32_i8 v[140:143], a[28:29], v[188:189], v[140:143]// 000000006550: D3D7008C 0E33791C
	buffer_load_dword v31, s[20:23], 0 offen lds               // 000000006558: E0511000 8005001F
	s_add_u32 m0, 0, s51                                       // 000000006560: 807C3380
	v_mfma_i32_16x16x32_i8 v[140:143], a[30:31], v[190:191], v[140:143]// 000000006564: D3D7008C 0E337D1E
	s_waitcnt vmcnt(20)                                        // 00000000656C: BF8C4F74
	v_mfma_i32_16x16x32_i8 v[144:147], a[32:33], v[160:161], v[144:147]// 000000006570: D3D70090 0E434120
	buffer_load_dwordx4 a[96:99], v34, s[24:27], 0 offen       // 000000006578: E05C1000 80866022
	v_mfma_i32_16x16x32_i8 v[144:147], a[34:35], v[162:163], v[144:147]// 000000006580: D3D70090 0E434522
	v_mfma_i32_16x16x32_i8 v[144:147], a[36:37], v[164:165], v[144:147]// 000000006588: D3D70090 0E434924
	ds_read_b128 v[192:195], v2 offset:8320                    // 000000006590: D9FE2080 C0000002
	v_mfma_i32_16x16x32_i8 v[144:147], a[38:39], v[166:167], v[144:147]// 000000006598: D3D70090 0E434D26
	v_mfma_i32_16x16x32_i8 v[144:147], a[40:41], v[168:169], v[144:147]// 0000000065A0: D3D70090 0E435128
	buffer_load_dwordx4 a[100:103], v34, s[24:27], 0 offen offset:1024// 0000000065A8: E05C1400 80866422
	v_mfma_i32_16x16x32_i8 v[144:147], a[42:43], v[170:171], v[144:147]// 0000000065B0: D3D70090 0E43552A
	v_mfma_i32_16x16x32_i8 v[144:147], a[44:45], v[172:173], v[144:147]// 0000000065B8: D3D70090 0E43592C
	ds_read_b128 v[196:199], v2 offset:8384                    // 0000000065C0: D9FE20C0 C4000002
	v_mfma_i32_16x16x32_i8 v[144:147], a[46:47], v[174:175], v[144:147]// 0000000065C8: D3D70090 0E435D2E
	v_mfma_i32_16x16x32_i8 v[148:151], a[32:33], v[176:177], v[148:151]// 0000000065D0: D3D70094 0E536120
	buffer_load_dwordx4 a[104:107], v34, s[24:27], 0 offen offset:2048// 0000000065D8: E05C1800 80866822
	v_mfma_i32_16x16x32_i8 v[148:151], a[34:35], v[178:179], v[148:151]// 0000000065E0: D3D70094 0E536522
	v_mfma_i32_16x16x32_i8 v[148:151], a[36:37], v[180:181], v[148:151]// 0000000065E8: D3D70094 0E536924
	ds_read_b128 v[200:203], v2 offset:8448                    // 0000000065F0: D9FE2100 C8000002
	v_mfma_i32_16x16x32_i8 v[148:151], a[38:39], v[182:183], v[148:151]// 0000000065F8: D3D70094 0E536D26
	v_mfma_i32_16x16x32_i8 v[148:151], a[40:41], v[184:185], v[148:151]// 000000006600: D3D70094 0E537128
	buffer_load_dwordx4 a[108:111], v34, s[24:27], 0 offen offset:3072// 000000006608: E05C1C00 80866C22
	v_mfma_i32_16x16x32_i8 v[148:151], a[42:43], v[186:187], v[148:151]// 000000006610: D3D70094 0E53752A
	v_mfma_i32_16x16x32_i8 v[148:151], a[44:45], v[188:189], v[148:151]// 000000006618: D3D70094 0E53792C
	ds_read_b128 v[204:207], v2 offset:8512                    // 000000006620: D9FE2140 CC000002
	v_mfma_i32_16x16x32_i8 v[148:151], a[46:47], v[190:191], v[148:151]// 000000006628: D3D70094 0E537D2E
	s_waitcnt vmcnt(20)                                        // 000000006630: BF8C4F74
	v_mfma_i32_16x16x32_i8 v[152:155], a[48:49], v[160:161], v[152:155]// 000000006634: D3D70098 0E634130
	buffer_load_dwordx4 a[112:115], v35, s[24:27], 0 offen     // 00000000663C: E05C1000 80867023
	v_mfma_i32_16x16x32_i8 v[152:155], a[50:51], v[162:163], v[152:155]// 000000006644: D3D70098 0E634532
	v_mfma_i32_16x16x32_i8 v[152:155], a[52:53], v[164:165], v[152:155]// 00000000664C: D3D70098 0E634934
	ds_read_b128 v[208:211], v2 offset:9344                    // 000000006654: D9FE2480 D0000002
	v_mfma_i32_16x16x32_i8 v[152:155], a[54:55], v[166:167], v[152:155]// 00000000665C: D3D70098 0E634D36
	v_mfma_i32_16x16x32_i8 v[152:155], a[56:57], v[168:169], v[152:155]// 000000006664: D3D70098 0E635138
	buffer_load_dwordx4 a[116:119], v35, s[24:27], 0 offen offset:1024// 00000000666C: E05C1400 80867423
	v_mfma_i32_16x16x32_i8 v[152:155], a[58:59], v[170:171], v[152:155]// 000000006674: D3D70098 0E63553A
	v_mfma_i32_16x16x32_i8 v[152:155], a[60:61], v[172:173], v[152:155]// 00000000667C: D3D70098 0E63593C
	ds_read_b128 v[212:215], v2 offset:9408                    // 000000006684: D9FE24C0 D4000002
	v_mfma_i32_16x16x32_i8 v[152:155], a[62:63], v[174:175], v[152:155]// 00000000668C: D3D70098 0E635D3E
	v_mfma_i32_16x16x32_i8 v[156:159], a[48:49], v[176:177], v[156:159]// 000000006694: D3D7009C 0E736130
	buffer_load_dwordx4 a[120:123], v35, s[24:27], 0 offen offset:2048// 00000000669C: E05C1800 80867823
	v_mfma_i32_16x16x32_i8 v[156:159], a[50:51], v[178:179], v[156:159]// 0000000066A4: D3D7009C 0E736532
	v_mfma_i32_16x16x32_i8 v[156:159], a[52:53], v[180:181], v[156:159]// 0000000066AC: D3D7009C 0E736934
	ds_read_b128 v[216:219], v2 offset:9472                    // 0000000066B4: D9FE2500 D8000002
	v_mfma_i32_16x16x32_i8 v[156:159], a[54:55], v[182:183], v[156:159]// 0000000066BC: D3D7009C 0E736D36
	v_mfma_i32_16x16x32_i8 v[156:159], a[56:57], v[184:185], v[156:159]// 0000000066C4: D3D7009C 0E737138
	buffer_load_dwordx4 a[124:127], v35, s[24:27], 0 offen offset:3072// 0000000066CC: E05C1C00 80867C23
	v_mfma_i32_16x16x32_i8 v[156:159], a[58:59], v[186:187], v[156:159]// 0000000066D4: D3D7009C 0E73753A
	v_mfma_i32_16x16x32_i8 v[156:159], a[60:61], v[188:189], v[156:159]// 0000000066DC: D3D7009C 0E73793C
	ds_read_b128 v[220:223], v2 offset:9536                    // 0000000066E4: D9FE2540 DC000002
	v_mfma_i32_16x16x32_i8 v[156:159], a[62:63], v[190:191], v[156:159]// 0000000066EC: D3D7009C 0E737D3E
	s_add_u32 s60, 0x300, s80                                  // 0000000066F4: 803C50FF 00000300
	s_cmp_lt_u32 s60, s81                                      // 0000000066FC: BF0A513C
	s_cselect_b32 s57, s57, 0                                  // 000000006700: 85398039
	s_add_u32 s60, 0x200, s80                                  // 000000006704: 803C50FF 00000200
	s_cmp_lt_u32 s60, s81                                      // 00000000670C: BF0A513C
	s_cselect_b32 s58, s58, 0                                  // 000000006710: 853A803A
	s_add_u32 s20, s57, s20                                    // 000000006714: 80141439
	s_addc_u32 s21, 0, s21                                     // 000000006718: 82151580
	s_add_u32 s24, s58, s24                                    // 00000000671C: 8018183A
	s_addc_u32 s25, 0, s25                                     // 000000006720: 82191980
	s_addk_i32 s80, 0x100                                      // 000000006724: B7500100
	s_cmp_lt_i32 s80, s81                                      // 000000006728: BF045150
	s_cbranch_scc0 label_0F2F                                  // 00000000672C: BF8400E3
	s_waitcnt vmcnt(8) lgkmcnt(0)                              // 000000006730: BF8C0078
	s_barrier                                                  // 000000006734: BF8A0000
	v_mfma_i32_16x16x32_i8 v[128:131], a[64:65], v[192:193], v[128:131]// 000000006738: D3D70080 0E038140
	buffer_load_dwordx4 a[0:3], v32, s[24:27], 0 offen         // 000000006740: E05C1000 80860020
	v_mfma_i32_16x16x32_i8 v[128:131], a[66:67], v[194:195], v[128:131]// 000000006748: D3D70080 0E038542
	v_mfma_i32_16x16x32_i8 v[128:131], a[68:69], v[196:197], v[128:131]// 000000006750: D3D70080 0E038944
	buffer_load_dword v24, s[20:23], 0 offen lds               // 000000006758: E0511000 80050018
	s_add_u32 m0, 0x100, s51                                   // 000000006760: 807C33FF 00000100
	v_mfma_i32_16x16x32_i8 v[128:131], a[70:71], v[198:199], v[128:131]// 000000006768: D3D70080 0E038D46
	v_mfma_i32_16x16x32_i8 v[128:131], a[72:73], v[200:201], v[128:131]// 000000006770: D3D70080 0E039148
	buffer_load_dwordx4 a[4:7], v32, s[24:27], 0 offen offset:1024// 000000006778: E05C1400 80860420
	v_mfma_i32_16x16x32_i8 v[128:131], a[74:75], v[202:203], v[128:131]// 000000006780: D3D70080 0E03954A
	v_mfma_i32_16x16x32_i8 v[128:131], a[76:77], v[204:205], v[128:131]// 000000006788: D3D70080 0E03994C
	buffer_load_dword v25, s[20:23], 0 offen lds               // 000000006790: E0511000 80050019
	s_add_u32 m0, 0x200, s51                                   // 000000006798: 807C33FF 00000200
	v_mfma_i32_16x16x32_i8 v[128:131], a[78:79], v[206:207], v[128:131]// 0000000067A0: D3D70080 0E039D4E
	v_mfma_i32_16x16x32_i8 v[132:135], a[64:65], v[208:209], v[132:135]// 0000000067A8: D3D70084 0E13A140
	buffer_load_dwordx4 a[8:11], v32, s[24:27], 0 offen offset:2048// 0000000067B0: E05C1800 80860820
	v_mfma_i32_16x16x32_i8 v[132:135], a[66:67], v[210:211], v[132:135]// 0000000067B8: D3D70084 0E13A542
	v_mfma_i32_16x16x32_i8 v[132:135], a[68:69], v[212:213], v[132:135]// 0000000067C0: D3D70084 0E13A944
	buffer_load_dword v26, s[20:23], 0 offen lds               // 0000000067C8: E0511000 8005001A
	s_add_u32 m0, 0x300, s51                                   // 0000000067D0: 807C33FF 00000300
	v_mfma_i32_16x16x32_i8 v[132:135], a[70:71], v[214:215], v[132:135]// 0000000067D8: D3D70084 0E13AD46
	v_mfma_i32_16x16x32_i8 v[132:135], a[72:73], v[216:217], v[132:135]// 0000000067E0: D3D70084 0E13B148
	buffer_load_dwordx4 a[12:15], v32, s[24:27], 0 offen offset:3072// 0000000067E8: E05C1C00 80860C20
	v_mfma_i32_16x16x32_i8 v[132:135], a[74:75], v[218:219], v[132:135]// 0000000067F0: D3D70084 0E13B54A
	v_mfma_i32_16x16x32_i8 v[132:135], a[76:77], v[220:221], v[132:135]// 0000000067F8: D3D70084 0E13B94C
	buffer_load_dword v27, s[20:23], 0 offen lds               // 000000006800: E0511000 8005001B
	s_add_u32 m0, 0x400, s51                                   // 000000006808: 807C33FF 00000400
	v_mfma_i32_16x16x32_i8 v[132:135], a[78:79], v[222:223], v[132:135]// 000000006810: D3D70084 0E13BD4E
	v_mfma_i32_16x16x32_i8 v[136:139], a[80:81], v[192:193], v[136:139]// 000000006818: D3D70088 0E238150
	buffer_load_dwordx4 a[16:19], v33, s[24:27], 0 offen       // 000000006820: E05C1000 80861021
	v_mfma_i32_16x16x32_i8 v[136:139], a[82:83], v[194:195], v[136:139]// 000000006828: D3D70088 0E238552
	v_mfma_i32_16x16x32_i8 v[136:139], a[84:85], v[196:197], v[136:139]// 000000006830: D3D70088 0E238954
	buffer_load_dword v28, s[20:23], 0 offen lds               // 000000006838: E0511000 8005001C
	s_add_u32 m0, 0x500, s51                                   // 000000006840: 807C33FF 00000500
	v_mfma_i32_16x16x32_i8 v[136:139], a[86:87], v[198:199], v[136:139]// 000000006848: D3D70088 0E238D56
	v_mfma_i32_16x16x32_i8 v[136:139], a[88:89], v[200:201], v[136:139]// 000000006850: D3D70088 0E239158
	buffer_load_dwordx4 a[20:23], v33, s[24:27], 0 offen offset:1024// 000000006858: E05C1400 80861421
	v_mfma_i32_16x16x32_i8 v[136:139], a[90:91], v[202:203], v[136:139]// 000000006860: D3D70088 0E23955A
	v_mfma_i32_16x16x32_i8 v[136:139], a[92:93], v[204:205], v[136:139]// 000000006868: D3D70088 0E23995C
	buffer_load_dword v29, s[20:23], 0 offen lds               // 000000006870: E0511000 8005001D
	s_add_u32 m0, 0x600, s51                                   // 000000006878: 807C33FF 00000600
	v_mfma_i32_16x16x32_i8 v[136:139], a[94:95], v[206:207], v[136:139]// 000000006880: D3D70088 0E239D5E
	v_mfma_i32_16x16x32_i8 v[140:143], a[80:81], v[208:209], v[140:143]// 000000006888: D3D7008C 0E33A150
	buffer_load_dwordx4 a[24:27], v33, s[24:27], 0 offen offset:2048// 000000006890: E05C1800 80861821
	v_mfma_i32_16x16x32_i8 v[140:143], a[82:83], v[210:211], v[140:143]// 000000006898: D3D7008C 0E33A552
	v_mfma_i32_16x16x32_i8 v[140:143], a[84:85], v[212:213], v[140:143]// 0000000068A0: D3D7008C 0E33A954
	buffer_load_dword v30, s[20:23], 0 offen lds               // 0000000068A8: E0511000 8005001E
	s_add_u32 m0, 0x700, s51                                   // 0000000068B0: 807C33FF 00000700
	v_mfma_i32_16x16x32_i8 v[140:143], a[86:87], v[214:215], v[140:143]// 0000000068B8: D3D7008C 0E33AD56
	v_mfma_i32_16x16x32_i8 v[140:143], a[88:89], v[216:217], v[140:143]// 0000000068C0: D3D7008C 0E33B158
	buffer_load_dwordx4 a[28:31], v33, s[24:27], 0 offen offset:3072// 0000000068C8: E05C1C00 80861C21
	v_mfma_i32_16x16x32_i8 v[140:143], a[90:91], v[218:219], v[140:143]// 0000000068D0: D3D7008C 0E33B55A
	v_mfma_i32_16x16x32_i8 v[140:143], a[92:93], v[220:221], v[140:143]// 0000000068D8: D3D7008C 0E33B95C
	buffer_load_dword v31, s[20:23], 0 offen lds               // 0000000068E0: E0511000 8005001F
	s_add_u32 m0, 0, s50                                       // 0000000068E8: 807C3280
	v_mfma_i32_16x16x32_i8 v[140:143], a[94:95], v[222:223], v[140:143]// 0000000068EC: D3D7008C 0E33BD5E
	s_waitcnt vmcnt(20)                                        // 0000000068F4: BF8C4F74
	v_mfma_i32_16x16x32_i8 v[144:147], a[96:97], v[192:193], v[144:147]// 0000000068F8: D3D70090 0E438160
	buffer_load_dwordx4 a[32:35], v34, s[24:27], 0 offen       // 000000006900: E05C1000 80862022
	v_mfma_i32_16x16x32_i8 v[144:147], a[98:99], v[194:195], v[144:147]// 000000006908: D3D70090 0E438562
	v_mfma_i32_16x16x32_i8 v[144:147], a[100:101], v[196:197], v[144:147]// 000000006910: D3D70090 0E438964
	ds_read_b128 v[160:163], v2                                // 000000006918: D9FE0000 A0000002
	v_mfma_i32_16x16x32_i8 v[144:147], a[102:103], v[198:199], v[144:147]// 000000006920: D3D70090 0E438D66
	v_mfma_i32_16x16x32_i8 v[144:147], a[104:105], v[200:201], v[144:147]// 000000006928: D3D70090 0E439168
	buffer_load_dwordx4 a[36:39], v34, s[24:27], 0 offen offset:1024// 000000006930: E05C1400 80862422
	v_mfma_i32_16x16x32_i8 v[144:147], a[106:107], v[202:203], v[144:147]// 000000006938: D3D70090 0E43956A
	v_mfma_i32_16x16x32_i8 v[144:147], a[108:109], v[204:205], v[144:147]// 000000006940: D3D70090 0E43996C
	ds_read_b128 v[164:167], v2 offset:64                      // 000000006948: D9FE0040 A4000002
	v_mfma_i32_16x16x32_i8 v[144:147], a[110:111], v[206:207], v[144:147]// 000000006950: D3D70090 0E439D6E
	v_mfma_i32_16x16x32_i8 v[148:151], a[96:97], v[208:209], v[148:151]// 000000006958: D3D70094 0E53A160
	buffer_load_dwordx4 a[40:43], v34, s[24:27], 0 offen offset:2048// 000000006960: E05C1800 80862822
	v_mfma_i32_16x16x32_i8 v[148:151], a[98:99], v[210:211], v[148:151]// 000000006968: D3D70094 0E53A562
	v_mfma_i32_16x16x32_i8 v[148:151], a[100:101], v[212:213], v[148:151]// 000000006970: D3D70094 0E53A964
	ds_read_b128 v[168:171], v2 offset:128                     // 000000006978: D9FE0080 A8000002
	v_mfma_i32_16x16x32_i8 v[148:151], a[102:103], v[214:215], v[148:151]// 000000006980: D3D70094 0E53AD66
	v_mfma_i32_16x16x32_i8 v[148:151], a[104:105], v[216:217], v[148:151]// 000000006988: D3D70094 0E53B168
	buffer_load_dwordx4 a[44:47], v34, s[24:27], 0 offen offset:3072// 000000006990: E05C1C00 80862C22
	v_mfma_i32_16x16x32_i8 v[148:151], a[106:107], v[218:219], v[148:151]// 000000006998: D3D70094 0E53B56A
	v_mfma_i32_16x16x32_i8 v[148:151], a[108:109], v[220:221], v[148:151]// 0000000069A0: D3D70094 0E53B96C
	ds_read_b128 v[172:175], v2 offset:192                     // 0000000069A8: D9FE00C0 AC000002
	v_mfma_i32_16x16x32_i8 v[148:151], a[110:111], v[222:223], v[148:151]// 0000000069B0: D3D70094 0E53BD6E
	s_waitcnt vmcnt(20)                                        // 0000000069B8: BF8C4F74
	v_mfma_i32_16x16x32_i8 v[152:155], a[112:113], v[192:193], v[152:155]// 0000000069BC: D3D70098 0E638170
	buffer_load_dwordx4 a[48:51], v35, s[24:27], 0 offen       // 0000000069C4: E05C1000 80863023
	v_mfma_i32_16x16x32_i8 v[152:155], a[114:115], v[194:195], v[152:155]// 0000000069CC: D3D70098 0E638572
	v_mfma_i32_16x16x32_i8 v[152:155], a[116:117], v[196:197], v[152:155]// 0000000069D4: D3D70098 0E638974
	ds_read_b128 v[176:179], v2 offset:1024                    // 0000000069DC: D9FE0400 B0000002
	v_mfma_i32_16x16x32_i8 v[152:155], a[118:119], v[198:199], v[152:155]// 0000000069E4: D3D70098 0E638D76
	v_mfma_i32_16x16x32_i8 v[152:155], a[120:121], v[200:201], v[152:155]// 0000000069EC: D3D70098 0E639178
	buffer_load_dwordx4 a[52:55], v35, s[24:27], 0 offen offset:1024// 0000000069F4: E05C1400 80863423
	v_mfma_i32_16x16x32_i8 v[152:155], a[122:123], v[202:203], v[152:155]// 0000000069FC: D3D70098 0E63957A
	v_mfma_i32_16x16x32_i8 v[152:155], a[124:125], v[204:205], v[152:155]// 000000006A04: D3D70098 0E63997C
	ds_read_b128 v[180:183], v2 offset:1088                    // 000000006A0C: D9FE0440 B4000002
	v_mfma_i32_16x16x32_i8 v[152:155], a[126:127], v[206:207], v[152:155]// 000000006A14: D3D70098 0E639D7E
	v_mfma_i32_16x16x32_i8 v[156:159], a[112:113], v[208:209], v[156:159]// 000000006A1C: D3D7009C 0E73A170
	buffer_load_dwordx4 a[56:59], v35, s[24:27], 0 offen offset:2048// 000000006A24: E05C1800 80863823
	v_mfma_i32_16x16x32_i8 v[156:159], a[114:115], v[210:211], v[156:159]// 000000006A2C: D3D7009C 0E73A572
	v_mfma_i32_16x16x32_i8 v[156:159], a[116:117], v[212:213], v[156:159]// 000000006A34: D3D7009C 0E73A974
	ds_read_b128 v[184:187], v2 offset:1152                    // 000000006A3C: D9FE0480 B8000002
	v_mfma_i32_16x16x32_i8 v[156:159], a[118:119], v[214:215], v[156:159]// 000000006A44: D3D7009C 0E73AD76
	v_mfma_i32_16x16x32_i8 v[156:159], a[120:121], v[216:217], v[156:159]// 000000006A4C: D3D7009C 0E73B178
	buffer_load_dwordx4 a[60:63], v35, s[24:27], 0 offen offset:3072// 000000006A54: E05C1C00 80863C23
	v_mfma_i32_16x16x32_i8 v[156:159], a[122:123], v[218:219], v[156:159]// 000000006A5C: D3D7009C 0E73B57A
	v_mfma_i32_16x16x32_i8 v[156:159], a[124:125], v[220:221], v[156:159]// 000000006A64: D3D7009C 0E73B97C
	ds_read_b128 v[188:191], v2 offset:1216                    // 000000006A6C: D9FE04C0 BC000002
	v_mfma_i32_16x16x32_i8 v[156:159], a[126:127], v[222:223], v[156:159]// 000000006A74: D3D7009C 0E73BD7E
	s_add_u32 s60, 0x300, s80                                  // 000000006A7C: 803C50FF 00000300
	s_cmp_lt_u32 s60, s81                                      // 000000006A84: BF0A513C
	s_cselect_b32 s57, s57, 0                                  // 000000006A88: 85398039
	s_add_u32 s60, 0x200, s80                                  // 000000006A8C: 803C50FF 00000200
	s_cmp_lt_u32 s60, s81                                      // 000000006A94: BF0A513C
	s_cselect_b32 s58, s58, 0                                  // 000000006A98: 853A803A
	s_add_u32 s20, s57, s20                                    // 000000006A9C: 80141439
	s_addc_u32 s21, 0, s21                                     // 000000006AA0: 82151580
	s_add_u32 s24, s58, s24                                    // 000000006AA4: 8018183A
	s_addc_u32 s25, 0, s25                                     // 000000006AA8: 82191980
	s_addk_i32 s80, 0x100                                      // 000000006AAC: B7500100
	s_cmp_lt_i32 s80, s81                                      // 000000006AB0: BF045150
	s_cbranch_scc0 label_0F2F                                  // 000000006AB4: BF840001
	s_branch label_0D6A                                        // 000000006AB8: BF82FE3B

0000000000006abc <label_0F2F>:
	s_mov_b32 s36, -1                                          // 000000006ABC: BEA400C1
	s_mov_b32 s37, -1                                          // 000000006AC0: BEA500C1
	s_mov_b64 s[60:61], 0                                      // 000000006AC4: BEBC0180
	s_cmp_lt_u32 s82, s66                                      // 000000006AC8: BF0A4252
	s_cselect_b64 s[20:21], s[36:37], s[60:61]                 // 000000006ACC: 85943C24
	s_cmp_lt_u32 s83, s66                                      // 000000006AD0: BF0A4253
	s_cselect_b64 s[22:23], s[36:37], s[60:61]                 // 000000006AD4: 85963C24
	s_cmp_lt_u32 s84, s66                                      // 000000006AD8: BF0A4254
	s_cselect_b64 s[24:25], s[36:37], s[60:61]                 // 000000006ADC: 85983C24
	s_cmp_lt_u32 s85, s66                                      // 000000006AE0: BF0A4255
	s_cselect_b64 s[26:27], s[36:37], s[60:61]                 // 000000006AE4: 859A3C24
	s_cmp_lt_u32 s86, s66                                      // 000000006AE8: BF0A4256
	s_cselect_b64 s[28:29], s[36:37], s[60:61]                 // 000000006AEC: 859C3C24
	s_cmp_lt_u32 s87, s66                                      // 000000006AF0: BF0A4257
	s_cselect_b64 s[30:31], s[36:37], s[60:61]                 // 000000006AF4: 859E3C24
	s_cmp_lt_u32 s88, s66                                      // 000000006AF8: BF0A4258
	s_cselect_b64 s[32:33], s[36:37], s[60:61]                 // 000000006AFC: 85A03C24
	s_cmp_lt_u32 s89, s66                                      // 000000006B00: BF0A4259
	s_cselect_b64 s[34:35], s[36:37], s[60:61]                 // 000000006B04: 85A23C24
	v_cvt_f32_i32_e32 v128, v128                               // 000000006B08: 7F000B80
	v_cvt_f32_i32_e32 v129, v129                               // 000000006B0C: 7F020B81
	v_cvt_f32_i32_e32 v130, v130                               // 000000006B10: 7F040B82
	v_cvt_f32_i32_e32 v131, v131                               // 000000006B14: 7F060B83
	v_mul_f32_e32 v128, v13, v128                              // 000000006B18: 0B01010D
	v_mul_f32_e32 v129, v13, v129                              // 000000006B1C: 0B03030D
	v_mul_f32_e32 v130, v13, v130                              // 000000006B20: 0B05050D
	v_mul_f32_e32 v131, v13, v131                              // 000000006B24: 0B07070D
	v_mul_f32_dpp v128, v15, v128 row_newbcast:0 row_mask:0xf bank_mask:0xf// 000000006B28: 0B0100FA FF01500F
	v_mul_f32_dpp v129, v15, v129 row_newbcast:1 row_mask:0xf bank_mask:0xf// 000000006B30: 0B0302FA FF01510F
	v_mul_f32_dpp v130, v15, v130 row_newbcast:2 row_mask:0xf bank_mask:0xf// 000000006B38: 0B0504FA FF01520F
	v_mul_f32_dpp v131, v15, v131 row_newbcast:3 row_mask:0xf bank_mask:0xf// 000000006B40: 0B0706FA FF01530F
	v_cvt_f32_i32_e32 v132, v132                               // 000000006B48: 7F080B84
	v_cvt_f32_i32_e32 v133, v133                               // 000000006B4C: 7F0A0B85
	v_cvt_f32_i32_e32 v134, v134                               // 000000006B50: 7F0C0B86
	v_cvt_f32_i32_e32 v135, v135                               // 000000006B54: 7F0E0B87
	v_mul_f32_e32 v132, v14, v132                              // 000000006B58: 0B09090E
	v_mul_f32_e32 v133, v14, v133                              // 000000006B5C: 0B0B0B0E
	v_mul_f32_e32 v134, v14, v134                              // 000000006B60: 0B0D0D0E
	v_mul_f32_e32 v135, v14, v135                              // 000000006B64: 0B0F0F0E
	v_mul_f32_dpp v132, v15, v132 row_newbcast:0 row_mask:0xf bank_mask:0xf// 000000006B68: 0B0908FA FF01500F
	v_mul_f32_dpp v133, v15, v133 row_newbcast:1 row_mask:0xf bank_mask:0xf// 000000006B70: 0B0B0AFA FF01510F
	v_mul_f32_dpp v134, v15, v134 row_newbcast:2 row_mask:0xf bank_mask:0xf// 000000006B78: 0B0D0CFA FF01520F
	v_mul_f32_dpp v135, v15, v135 row_newbcast:3 row_mask:0xf bank_mask:0xf// 000000006B80: 0B0F0EFA FF01530F
	v_cvt_f32_i32_e32 v136, v136                               // 000000006B88: 7F100B88
	v_cvt_f32_i32_e32 v137, v137                               // 000000006B8C: 7F120B89
	v_cvt_f32_i32_e32 v138, v138                               // 000000006B90: 7F140B8A
	v_cvt_f32_i32_e32 v139, v139                               // 000000006B94: 7F160B8B
	v_mul_f32_e32 v136, v13, v136                              // 000000006B98: 0B11110D
	v_mul_f32_e32 v137, v13, v137                              // 000000006B9C: 0B13130D
	v_mul_f32_e32 v138, v13, v138                              // 000000006BA0: 0B15150D
	v_mul_f32_e32 v139, v13, v139                              // 000000006BA4: 0B17170D
	v_mul_f32_dpp v136, v15, v136 row_newbcast:4 row_mask:0xf bank_mask:0xf// 000000006BA8: 0B1110FA FF01540F
	v_mul_f32_dpp v137, v15, v137 row_newbcast:5 row_mask:0xf bank_mask:0xf// 000000006BB0: 0B1312FA FF01550F
	v_mul_f32_dpp v138, v15, v138 row_newbcast:6 row_mask:0xf bank_mask:0xf// 000000006BB8: 0B1514FA FF01560F
	v_mul_f32_dpp v139, v15, v139 row_newbcast:7 row_mask:0xf bank_mask:0xf// 000000006BC0: 0B1716FA FF01570F
	v_cvt_f32_i32_e32 v140, v140                               // 000000006BC8: 7F180B8C
	v_cvt_f32_i32_e32 v141, v141                               // 000000006BCC: 7F1A0B8D
	v_cvt_f32_i32_e32 v142, v142                               // 000000006BD0: 7F1C0B8E
	v_cvt_f32_i32_e32 v143, v143                               // 000000006BD4: 7F1E0B8F
	v_mul_f32_e32 v140, v14, v140                              // 000000006BD8: 0B19190E
	v_mul_f32_e32 v141, v14, v141                              // 000000006BDC: 0B1B1B0E
	v_mul_f32_e32 v142, v14, v142                              // 000000006BE0: 0B1D1D0E
	v_mul_f32_e32 v143, v14, v143                              // 000000006BE4: 0B1F1F0E
	v_mul_f32_dpp v140, v15, v140 row_newbcast:4 row_mask:0xf bank_mask:0xf// 000000006BE8: 0B1918FA FF01540F
	v_mul_f32_dpp v141, v15, v141 row_newbcast:5 row_mask:0xf bank_mask:0xf// 000000006BF0: 0B1B1AFA FF01550F
	v_mul_f32_dpp v142, v15, v142 row_newbcast:6 row_mask:0xf bank_mask:0xf// 000000006BF8: 0B1D1CFA FF01560F
	v_mul_f32_dpp v143, v15, v143 row_newbcast:7 row_mask:0xf bank_mask:0xf// 000000006C00: 0B1F1EFA FF01570F
	v_cvt_f32_i32_e32 v144, v144                               // 000000006C08: 7F200B90
	v_cvt_f32_i32_e32 v145, v145                               // 000000006C0C: 7F220B91
	v_cvt_f32_i32_e32 v146, v146                               // 000000006C10: 7F240B92
	v_cvt_f32_i32_e32 v147, v147                               // 000000006C14: 7F260B93
	v_mul_f32_e32 v144, v13, v144                              // 000000006C18: 0B21210D
	v_mul_f32_e32 v145, v13, v145                              // 000000006C1C: 0B23230D
	v_mul_f32_e32 v146, v13, v146                              // 000000006C20: 0B25250D
	v_mul_f32_e32 v147, v13, v147                              // 000000006C24: 0B27270D
	v_mul_f32_dpp v144, v15, v144 row_newbcast:8 row_mask:0xf bank_mask:0xf// 000000006C28: 0B2120FA FF01580F
	v_mul_f32_dpp v145, v15, v145 row_newbcast:9 row_mask:0xf bank_mask:0xf// 000000006C30: 0B2322FA FF01590F
	v_mul_f32_dpp v146, v15, v146 row_newbcast:10 row_mask:0xf bank_mask:0xf// 000000006C38: 0B2524FA FF015A0F
	v_mul_f32_dpp v147, v15, v147 row_newbcast:11 row_mask:0xf bank_mask:0xf// 000000006C40: 0B2726FA FF015B0F
	v_cvt_f32_i32_e32 v148, v148                               // 000000006C48: 7F280B94
	v_cvt_f32_i32_e32 v149, v149                               // 000000006C4C: 7F2A0B95
	v_cvt_f32_i32_e32 v150, v150                               // 000000006C50: 7F2C0B96
	v_cvt_f32_i32_e32 v151, v151                               // 000000006C54: 7F2E0B97
	v_mul_f32_e32 v148, v14, v148                              // 000000006C58: 0B29290E
	v_mul_f32_e32 v149, v14, v149                              // 000000006C5C: 0B2B2B0E
	v_mul_f32_e32 v150, v14, v150                              // 000000006C60: 0B2D2D0E
	v_mul_f32_e32 v151, v14, v151                              // 000000006C64: 0B2F2F0E
	v_mul_f32_dpp v148, v15, v148 row_newbcast:8 row_mask:0xf bank_mask:0xf// 000000006C68: 0B2928FA FF01580F
	v_mul_f32_dpp v149, v15, v149 row_newbcast:9 row_mask:0xf bank_mask:0xf// 000000006C70: 0B2B2AFA FF01590F
	v_mul_f32_dpp v150, v15, v150 row_newbcast:10 row_mask:0xf bank_mask:0xf// 000000006C78: 0B2D2CFA FF015A0F
	v_mul_f32_dpp v151, v15, v151 row_newbcast:11 row_mask:0xf bank_mask:0xf// 000000006C80: 0B2F2EFA FF015B0F
	v_cvt_f32_i32_e32 v152, v152                               // 000000006C88: 7F300B98
	v_cvt_f32_i32_e32 v153, v153                               // 000000006C8C: 7F320B99
	v_cvt_f32_i32_e32 v154, v154                               // 000000006C90: 7F340B9A
	v_cvt_f32_i32_e32 v155, v155                               // 000000006C94: 7F360B9B
	v_mul_f32_e32 v152, v13, v152                              // 000000006C98: 0B31310D
	v_mul_f32_e32 v153, v13, v153                              // 000000006C9C: 0B33330D
	v_mul_f32_e32 v154, v13, v154                              // 000000006CA0: 0B35350D
	v_mul_f32_e32 v155, v13, v155                              // 000000006CA4: 0B37370D
	v_mul_f32_dpp v152, v15, v152 row_newbcast:12 row_mask:0xf bank_mask:0xf// 000000006CA8: 0B3130FA FF015C0F
	v_mul_f32_dpp v153, v15, v153 row_newbcast:13 row_mask:0xf bank_mask:0xf// 000000006CB0: 0B3332FA FF015D0F
	v_mul_f32_dpp v154, v15, v154 row_newbcast:14 row_mask:0xf bank_mask:0xf// 000000006CB8: 0B3534FA FF015E0F
	v_mul_f32_dpp v155, v15, v155 row_newbcast:15 row_mask:0xf bank_mask:0xf// 000000006CC0: 0B3736FA FF015F0F
	v_cvt_f32_i32_e32 v156, v156                               // 000000006CC8: 7F380B9C
	v_cvt_f32_i32_e32 v157, v157                               // 000000006CCC: 7F3A0B9D
	v_cvt_f32_i32_e32 v158, v158                               // 000000006CD0: 7F3C0B9E
	v_cvt_f32_i32_e32 v159, v159                               // 000000006CD4: 7F3E0B9F
	v_mul_f32_e32 v156, v14, v156                              // 000000006CD8: 0B39390E
	v_mul_f32_e32 v157, v14, v157                              // 000000006CDC: 0B3B3B0E
	v_mul_f32_e32 v158, v14, v158                              // 000000006CE0: 0B3D3D0E
	v_mul_f32_e32 v159, v14, v159                              // 000000006CE4: 0B3F3F0E
	v_mul_f32_dpp v156, v15, v156 row_newbcast:12 row_mask:0xf bank_mask:0xf// 000000006CE8: 0B3938FA FF015C0F
	v_mul_f32_dpp v157, v15, v157 row_newbcast:13 row_mask:0xf bank_mask:0xf// 000000006CF0: 0B3B3AFA FF015D0F
	v_mul_f32_dpp v158, v15, v158 row_newbcast:14 row_mask:0xf bank_mask:0xf// 000000006CF8: 0B3D3CFA FF015E0F
	v_mul_f32_dpp v159, v15, v159 row_newbcast:15 row_mask:0xf bank_mask:0xf// 000000006D00: 0B3F3EFA FF015F0F
	s_waitcnt vmcnt(12)                                        // 000000006D08: BF8C0F7C
	buffer_load_dwordx4 a[0:3], v36, s[12:15], 0 offen         // 000000006D0C: E05C1000 80830024
	v_mul_f32_e32 v44, v128, v128                              // 000000006D14: 0A590180
	v_mul_f32_e32 v45, v129, v129                              // 000000006D18: 0A5B0381
	v_mul_f32_e32 v46, v130, v130                              // 000000006D1C: 0A5D0582
	v_mul_f32_e32 v47, v131, v131                              // 000000006D20: 0A5F0783
	v_fma_f32 v44, v44, s77, v1                                // 000000006D24: D1CB002C 04049B2C
	v_fma_f32 v45, v45, s77, v1                                // 000000006D2C: D1CB002D 04049B2D
	v_fma_f32 v46, v46, s77, v1                                // 000000006D34: D1CB002E 04049B2E
	v_fma_f32 v47, v47, s77, v1                                // 000000006D3C: D1CB002F 04049B2F
	v_mul_f32_e32 v44, v44, v128                               // 000000006D44: 0A59012C
	v_mul_f32_e32 v45, v45, v129                               // 000000006D48: 0A5B032D
	v_mul_f32_e32 v46, v46, v130                               // 000000006D4C: 0A5D052E
	v_mul_f32_e32 v47, v47, v131                               // 000000006D50: 0A5F072F
	v_mul_f32_e64 v44, v44, s6                                 // 000000006D54: D105002C 00000D2C
	v_mul_f32_e64 v45, v45, s6                                 // 000000006D5C: D105002D 00000D2D
	v_mul_f32_e64 v46, v46, s6                                 // 000000006D64: D105002E 00000D2E
	v_mul_f32_e64 v47, v47, s6                                 // 000000006D6C: D105002F 00000D2F
	v_exp_f32_e32 v44, v44                                     // 000000006D74: 7E58412C
	v_exp_f32_e32 v45, v45                                     // 000000006D78: 7E5A412D
	v_exp_f32_e32 v46, v46                                     // 000000006D7C: 7E5C412E
	v_exp_f32_e32 v47, v47                                     // 000000006D80: 7E5E412F
	buffer_load_dwordx4 a[4:7], v37, s[12:15], 0 offen         // 000000006D84: E05C1000 80830425
	v_add_f32_e64 v44, v44, 1.0                                // 000000006D8C: D101002C 0001E52C
	v_add_f32_e64 v45, v45, 1.0                                // 000000006D94: D101002D 0001E52D
	v_add_f32_e64 v46, v46, 1.0                                // 000000006D9C: D101002E 0001E52E
	v_add_f32_e64 v47, v47, 1.0                                // 000000006DA4: D101002F 0001E52F
	v_rcp_f32_e32 v44, v44                                     // 000000006DAC: 7E58452C
	v_rcp_f32_e32 v45, v45                                     // 000000006DB0: 7E5A452D
	v_rcp_f32_e32 v46, v46                                     // 000000006DB4: 7E5C452E
	v_rcp_f32_e32 v47, v47                                     // 000000006DB8: 7E5E452F
	v_mul_f32_e32 v128, v128, v44                              // 000000006DBC: 0B005980
	v_mul_f32_e32 v129, v129, v45                              // 000000006DC0: 0B025B81
	v_mul_f32_e32 v130, v130, v46                              // 000000006DC4: 0B045D82
	v_mul_f32_e32 v131, v131, v47                              // 000000006DC8: 0B065F83
	buffer_load_dwordx4 a[8:11], v38, s[12:15], 0 offen        // 000000006DCC: E05C1000 80830826
	v_mul_f32_e32 v44, v132, v132                              // 000000006DD4: 0A590984
	v_mul_f32_e32 v45, v133, v133                              // 000000006DD8: 0A5B0B85
	v_mul_f32_e32 v46, v134, v134                              // 000000006DDC: 0A5D0D86
	v_mul_f32_e32 v47, v135, v135                              // 000000006DE0: 0A5F0F87
	v_fma_f32 v44, v44, s77, v1                                // 000000006DE4: D1CB002C 04049B2C
	v_fma_f32 v45, v45, s77, v1                                // 000000006DEC: D1CB002D 04049B2D
	v_fma_f32 v46, v46, s77, v1                                // 000000006DF4: D1CB002E 04049B2E
	v_fma_f32 v47, v47, s77, v1                                // 000000006DFC: D1CB002F 04049B2F
	v_mul_f32_e32 v44, v44, v132                               // 000000006E04: 0A59092C
	v_mul_f32_e32 v45, v45, v133                               // 000000006E08: 0A5B0B2D
	v_mul_f32_e32 v46, v46, v134                               // 000000006E0C: 0A5D0D2E
	v_mul_f32_e32 v47, v47, v135                               // 000000006E10: 0A5F0F2F
	v_mul_f32_e64 v44, v44, s6                                 // 000000006E14: D105002C 00000D2C
	v_mul_f32_e64 v45, v45, s6                                 // 000000006E1C: D105002D 00000D2D
	v_mul_f32_e64 v46, v46, s6                                 // 000000006E24: D105002E 00000D2E
	v_mul_f32_e64 v47, v47, s6                                 // 000000006E2C: D105002F 00000D2F
	v_exp_f32_e32 v44, v44                                     // 000000006E34: 7E58412C
	v_exp_f32_e32 v45, v45                                     // 000000006E38: 7E5A412D
	v_exp_f32_e32 v46, v46                                     // 000000006E3C: 7E5C412E
	v_exp_f32_e32 v47, v47                                     // 000000006E40: 7E5E412F
	buffer_load_dwordx4 a[12:15], v39, s[12:15], 0 offen       // 000000006E44: E05C1000 80830C27
	s_add_u32 s12, s78, s12                                    // 000000006E4C: 800C0C4E
	s_addc_u32 s13, 0, s13                                     // 000000006E50: 820D0D80
	v_add_f32_e64 v44, v44, 1.0                                // 000000006E54: D101002C 0001E52C
	v_add_f32_e64 v45, v45, 1.0                                // 000000006E5C: D101002D 0001E52D
	v_add_f32_e64 v46, v46, 1.0                                // 000000006E64: D101002E 0001E52E
	v_add_f32_e64 v47, v47, 1.0                                // 000000006E6C: D101002F 0001E52F
	v_rcp_f32_e32 v44, v44                                     // 000000006E74: 7E58452C
	v_rcp_f32_e32 v45, v45                                     // 000000006E78: 7E5A452D
	v_rcp_f32_e32 v46, v46                                     // 000000006E7C: 7E5C452E
	v_rcp_f32_e32 v47, v47                                     // 000000006E80: 7E5E452F
	v_mul_f32_e32 v132, v132, v44                              // 000000006E84: 0B085984
	v_mul_f32_e32 v133, v133, v45                              // 000000006E88: 0B0A5B85
	v_mul_f32_e32 v134, v134, v46                              // 000000006E8C: 0B0C5D86
	v_mul_f32_e32 v135, v135, v47                              // 000000006E90: 0B0E5F87
	s_waitcnt vmcnt(12)                                        // 000000006E94: BF8C0F7C
	buffer_load_dwordx4 a[16:19], v36, s[12:15], 0 offen       // 000000006E98: E05C1000 80831024
	v_mul_f32_e32 v44, v136, v136                              // 000000006EA0: 0A591188
	v_mul_f32_e32 v45, v137, v137                              // 000000006EA4: 0A5B1389
	v_mul_f32_e32 v46, v138, v138                              // 000000006EA8: 0A5D158A
	v_mul_f32_e32 v47, v139, v139                              // 000000006EAC: 0A5F178B
	v_fma_f32 v44, v44, s77, v1                                // 000000006EB0: D1CB002C 04049B2C
	v_fma_f32 v45, v45, s77, v1                                // 000000006EB8: D1CB002D 04049B2D
	v_fma_f32 v46, v46, s77, v1                                // 000000006EC0: D1CB002E 04049B2E
	v_fma_f32 v47, v47, s77, v1                                // 000000006EC8: D1CB002F 04049B2F
	v_mul_f32_e32 v44, v44, v136                               // 000000006ED0: 0A59112C
	v_mul_f32_e32 v45, v45, v137                               // 000000006ED4: 0A5B132D
	v_mul_f32_e32 v46, v46, v138                               // 000000006ED8: 0A5D152E
	v_mul_f32_e32 v47, v47, v139                               // 000000006EDC: 0A5F172F
	v_mul_f32_e64 v44, v44, s6                                 // 000000006EE0: D105002C 00000D2C
	v_mul_f32_e64 v45, v45, s6                                 // 000000006EE8: D105002D 00000D2D
	v_mul_f32_e64 v46, v46, s6                                 // 000000006EF0: D105002E 00000D2E
	v_mul_f32_e64 v47, v47, s6                                 // 000000006EF8: D105002F 00000D2F
	v_exp_f32_e32 v44, v44                                     // 000000006F00: 7E58412C
	v_exp_f32_e32 v45, v45                                     // 000000006F04: 7E5A412D
	v_exp_f32_e32 v46, v46                                     // 000000006F08: 7E5C412E
	v_exp_f32_e32 v47, v47                                     // 000000006F0C: 7E5E412F
	buffer_load_dwordx4 a[20:23], v37, s[12:15], 0 offen       // 000000006F10: E05C1000 80831425
	v_add_f32_e64 v44, v44, 1.0                                // 000000006F18: D101002C 0001E52C
	v_add_f32_e64 v45, v45, 1.0                                // 000000006F20: D101002D 0001E52D
	v_add_f32_e64 v46, v46, 1.0                                // 000000006F28: D101002E 0001E52E
	v_add_f32_e64 v47, v47, 1.0                                // 000000006F30: D101002F 0001E52F
	v_rcp_f32_e32 v44, v44                                     // 000000006F38: 7E58452C
	v_rcp_f32_e32 v45, v45                                     // 000000006F3C: 7E5A452D
	v_rcp_f32_e32 v46, v46                                     // 000000006F40: 7E5C452E
	v_rcp_f32_e32 v47, v47                                     // 000000006F44: 7E5E452F
	v_mul_f32_e32 v136, v136, v44                              // 000000006F48: 0B105988
	v_mul_f32_e32 v137, v137, v45                              // 000000006F4C: 0B125B89
	v_mul_f32_e32 v138, v138, v46                              // 000000006F50: 0B145D8A
	v_mul_f32_e32 v139, v139, v47                              // 000000006F54: 0B165F8B
	buffer_load_dwordx4 a[24:27], v38, s[12:15], 0 offen       // 000000006F58: E05C1000 80831826
	v_mul_f32_e32 v44, v140, v140                              // 000000006F60: 0A59198C
	v_mul_f32_e32 v45, v141, v141                              // 000000006F64: 0A5B1B8D
	v_mul_f32_e32 v46, v142, v142                              // 000000006F68: 0A5D1D8E
	v_mul_f32_e32 v47, v143, v143                              // 000000006F6C: 0A5F1F8F
	v_fma_f32 v44, v44, s77, v1                                // 000000006F70: D1CB002C 04049B2C
	v_fma_f32 v45, v45, s77, v1                                // 000000006F78: D1CB002D 04049B2D
	v_fma_f32 v46, v46, s77, v1                                // 000000006F80: D1CB002E 04049B2E
	v_fma_f32 v47, v47, s77, v1                                // 000000006F88: D1CB002F 04049B2F
	v_mul_f32_e32 v44, v44, v140                               // 000000006F90: 0A59192C
	v_mul_f32_e32 v45, v45, v141                               // 000000006F94: 0A5B1B2D
	v_mul_f32_e32 v46, v46, v142                               // 000000006F98: 0A5D1D2E
	v_mul_f32_e32 v47, v47, v143                               // 000000006F9C: 0A5F1F2F
	v_mul_f32_e64 v44, v44, s6                                 // 000000006FA0: D105002C 00000D2C
	v_mul_f32_e64 v45, v45, s6                                 // 000000006FA8: D105002D 00000D2D
	v_mul_f32_e64 v46, v46, s6                                 // 000000006FB0: D105002E 00000D2E
	v_mul_f32_e64 v47, v47, s6                                 // 000000006FB8: D105002F 00000D2F
	v_exp_f32_e32 v44, v44                                     // 000000006FC0: 7E58412C
	v_exp_f32_e32 v45, v45                                     // 000000006FC4: 7E5A412D
	v_exp_f32_e32 v46, v46                                     // 000000006FC8: 7E5C412E
	v_exp_f32_e32 v47, v47                                     // 000000006FCC: 7E5E412F
	buffer_load_dwordx4 a[28:31], v39, s[12:15], 0 offen       // 000000006FD0: E05C1000 80831C27
	s_add_u32 s12, s78, s12                                    // 000000006FD8: 800C0C4E
	s_addc_u32 s13, 0, s13                                     // 000000006FDC: 820D0D80
	v_add_f32_e64 v44, v44, 1.0                                // 000000006FE0: D101002C 0001E52C
	v_add_f32_e64 v45, v45, 1.0                                // 000000006FE8: D101002D 0001E52D
	v_add_f32_e64 v46, v46, 1.0                                // 000000006FF0: D101002E 0001E52E
	v_add_f32_e64 v47, v47, 1.0                                // 000000006FF8: D101002F 0001E52F
	v_rcp_f32_e32 v44, v44                                     // 000000007000: 7E58452C
	v_rcp_f32_e32 v45, v45                                     // 000000007004: 7E5A452D
	v_rcp_f32_e32 v46, v46                                     // 000000007008: 7E5C452E
	v_rcp_f32_e32 v47, v47                                     // 00000000700C: 7E5E452F
	v_mul_f32_e32 v140, v140, v44                              // 000000007010: 0B18598C
	v_mul_f32_e32 v141, v141, v45                              // 000000007014: 0B1A5B8D
	v_mul_f32_e32 v142, v142, v46                              // 000000007018: 0B1C5D8E
	v_mul_f32_e32 v143, v143, v47                              // 00000000701C: 0B1E5F8F
	s_waitcnt vmcnt(12)                                        // 000000007020: BF8C0F7C
	buffer_load_dwordx4 a[32:35], v36, s[12:15], 0 offen       // 000000007024: E05C1000 80832024
	v_mul_f32_e32 v44, v144, v144                              // 00000000702C: 0A592190
	v_mul_f32_e32 v45, v145, v145                              // 000000007030: 0A5B2391
	v_mul_f32_e32 v46, v146, v146                              // 000000007034: 0A5D2592
	v_mul_f32_e32 v47, v147, v147                              // 000000007038: 0A5F2793
	v_fma_f32 v44, v44, s77, v1                                // 00000000703C: D1CB002C 04049B2C
	v_fma_f32 v45, v45, s77, v1                                // 000000007044: D1CB002D 04049B2D
	v_fma_f32 v46, v46, s77, v1                                // 00000000704C: D1CB002E 04049B2E
	v_fma_f32 v47, v47, s77, v1                                // 000000007054: D1CB002F 04049B2F
	v_mul_f32_e32 v44, v44, v144                               // 00000000705C: 0A59212C
	v_mul_f32_e32 v45, v45, v145                               // 000000007060: 0A5B232D
	v_mul_f32_e32 v46, v46, v146                               // 000000007064: 0A5D252E
	v_mul_f32_e32 v47, v47, v147                               // 000000007068: 0A5F272F
	v_mul_f32_e64 v44, v44, s6                                 // 00000000706C: D105002C 00000D2C
	v_mul_f32_e64 v45, v45, s6                                 // 000000007074: D105002D 00000D2D
	v_mul_f32_e64 v46, v46, s6                                 // 00000000707C: D105002E 00000D2E
	v_mul_f32_e64 v47, v47, s6                                 // 000000007084: D105002F 00000D2F
	v_exp_f32_e32 v44, v44                                     // 00000000708C: 7E58412C
	v_exp_f32_e32 v45, v45                                     // 000000007090: 7E5A412D
	v_exp_f32_e32 v46, v46                                     // 000000007094: 7E5C412E
	v_exp_f32_e32 v47, v47                                     // 000000007098: 7E5E412F
	buffer_load_dwordx4 a[36:39], v37, s[12:15], 0 offen       // 00000000709C: E05C1000 80832425
	v_add_f32_e64 v44, v44, 1.0                                // 0000000070A4: D101002C 0001E52C
	v_add_f32_e64 v45, v45, 1.0                                // 0000000070AC: D101002D 0001E52D
	v_add_f32_e64 v46, v46, 1.0                                // 0000000070B4: D101002E 0001E52E
	v_add_f32_e64 v47, v47, 1.0                                // 0000000070BC: D101002F 0001E52F
	v_rcp_f32_e32 v44, v44                                     // 0000000070C4: 7E58452C
	v_rcp_f32_e32 v45, v45                                     // 0000000070C8: 7E5A452D
	v_rcp_f32_e32 v46, v46                                     // 0000000070CC: 7E5C452E
	v_rcp_f32_e32 v47, v47                                     // 0000000070D0: 7E5E452F
	v_mul_f32_e32 v144, v144, v44                              // 0000000070D4: 0B205990
	v_mul_f32_e32 v145, v145, v45                              // 0000000070D8: 0B225B91
	v_mul_f32_e32 v146, v146, v46                              // 0000000070DC: 0B245D92
	v_mul_f32_e32 v147, v147, v47                              // 0000000070E0: 0B265F93
	buffer_load_dwordx4 a[40:43], v38, s[12:15], 0 offen       // 0000000070E4: E05C1000 80832826
	v_mul_f32_e32 v44, v148, v148                              // 0000000070EC: 0A592994
	v_mul_f32_e32 v45, v149, v149                              // 0000000070F0: 0A5B2B95
	v_mul_f32_e32 v46, v150, v150                              // 0000000070F4: 0A5D2D96
	v_mul_f32_e32 v47, v151, v151                              // 0000000070F8: 0A5F2F97
	v_fma_f32 v44, v44, s77, v1                                // 0000000070FC: D1CB002C 04049B2C
	v_fma_f32 v45, v45, s77, v1                                // 000000007104: D1CB002D 04049B2D
	v_fma_f32 v46, v46, s77, v1                                // 00000000710C: D1CB002E 04049B2E
	v_fma_f32 v47, v47, s77, v1                                // 000000007114: D1CB002F 04049B2F
	v_mul_f32_e32 v44, v44, v148                               // 00000000711C: 0A59292C
	v_mul_f32_e32 v45, v45, v149                               // 000000007120: 0A5B2B2D
	v_mul_f32_e32 v46, v46, v150                               // 000000007124: 0A5D2D2E
	v_mul_f32_e32 v47, v47, v151                               // 000000007128: 0A5F2F2F
	v_mul_f32_e64 v44, v44, s6                                 // 00000000712C: D105002C 00000D2C
	v_mul_f32_e64 v45, v45, s6                                 // 000000007134: D105002D 00000D2D
	v_mul_f32_e64 v46, v46, s6                                 // 00000000713C: D105002E 00000D2E
	v_mul_f32_e64 v47, v47, s6                                 // 000000007144: D105002F 00000D2F
	v_exp_f32_e32 v44, v44                                     // 00000000714C: 7E58412C
	v_exp_f32_e32 v45, v45                                     // 000000007150: 7E5A412D
	v_exp_f32_e32 v46, v46                                     // 000000007154: 7E5C412E
	v_exp_f32_e32 v47, v47                                     // 000000007158: 7E5E412F
	buffer_load_dwordx4 a[44:47], v39, s[12:15], 0 offen       // 00000000715C: E05C1000 80832C27
	s_add_u32 s12, s78, s12                                    // 000000007164: 800C0C4E
	s_addc_u32 s13, 0, s13                                     // 000000007168: 820D0D80
	v_add_f32_e64 v44, v44, 1.0                                // 00000000716C: D101002C 0001E52C
	v_add_f32_e64 v45, v45, 1.0                                // 000000007174: D101002D 0001E52D
	v_add_f32_e64 v46, v46, 1.0                                // 00000000717C: D101002E 0001E52E
	v_add_f32_e64 v47, v47, 1.0                                // 000000007184: D101002F 0001E52F
	v_rcp_f32_e32 v44, v44                                     // 00000000718C: 7E58452C
	v_rcp_f32_e32 v45, v45                                     // 000000007190: 7E5A452D
	v_rcp_f32_e32 v46, v46                                     // 000000007194: 7E5C452E
	v_rcp_f32_e32 v47, v47                                     // 000000007198: 7E5E452F
	v_mul_f32_e32 v148, v148, v44                              // 00000000719C: 0B285994
	v_mul_f32_e32 v149, v149, v45                              // 0000000071A0: 0B2A5B95
	v_mul_f32_e32 v150, v150, v46                              // 0000000071A4: 0B2C5D96
	v_mul_f32_e32 v151, v151, v47                              // 0000000071A8: 0B2E5F97
	s_waitcnt vmcnt(12)                                        // 0000000071AC: BF8C0F7C
	buffer_load_dwordx4 a[48:51], v36, s[12:15], 0 offen       // 0000000071B0: E05C1000 80833024
	v_mul_f32_e32 v44, v152, v152                              // 0000000071B8: 0A593198
	v_mul_f32_e32 v45, v153, v153                              // 0000000071BC: 0A5B3399
	v_mul_f32_e32 v46, v154, v154                              // 0000000071C0: 0A5D359A
	v_mul_f32_e32 v47, v155, v155                              // 0000000071C4: 0A5F379B
	v_fma_f32 v44, v44, s77, v1                                // 0000000071C8: D1CB002C 04049B2C
	v_fma_f32 v45, v45, s77, v1                                // 0000000071D0: D1CB002D 04049B2D
	v_fma_f32 v46, v46, s77, v1                                // 0000000071D8: D1CB002E 04049B2E
	v_fma_f32 v47, v47, s77, v1                                // 0000000071E0: D1CB002F 04049B2F
	v_mul_f32_e32 v44, v44, v152                               // 0000000071E8: 0A59312C
	v_mul_f32_e32 v45, v45, v153                               // 0000000071EC: 0A5B332D
	v_mul_f32_e32 v46, v46, v154                               // 0000000071F0: 0A5D352E
	v_mul_f32_e32 v47, v47, v155                               // 0000000071F4: 0A5F372F
	v_mul_f32_e64 v44, v44, s6                                 // 0000000071F8: D105002C 00000D2C
	v_mul_f32_e64 v45, v45, s6                                 // 000000007200: D105002D 00000D2D
	v_mul_f32_e64 v46, v46, s6                                 // 000000007208: D105002E 00000D2E
	v_mul_f32_e64 v47, v47, s6                                 // 000000007210: D105002F 00000D2F
	v_exp_f32_e32 v44, v44                                     // 000000007218: 7E58412C
	v_exp_f32_e32 v45, v45                                     // 00000000721C: 7E5A412D
	v_exp_f32_e32 v46, v46                                     // 000000007220: 7E5C412E
	v_exp_f32_e32 v47, v47                                     // 000000007224: 7E5E412F
	buffer_load_dwordx4 a[52:55], v37, s[12:15], 0 offen       // 000000007228: E05C1000 80833425
	v_add_f32_e64 v44, v44, 1.0                                // 000000007230: D101002C 0001E52C
	v_add_f32_e64 v45, v45, 1.0                                // 000000007238: D101002D 0001E52D
	v_add_f32_e64 v46, v46, 1.0                                // 000000007240: D101002E 0001E52E
	v_add_f32_e64 v47, v47, 1.0                                // 000000007248: D101002F 0001E52F
	v_rcp_f32_e32 v44, v44                                     // 000000007250: 7E58452C
	v_rcp_f32_e32 v45, v45                                     // 000000007254: 7E5A452D
	v_rcp_f32_e32 v46, v46                                     // 000000007258: 7E5C452E
	v_rcp_f32_e32 v47, v47                                     // 00000000725C: 7E5E452F
	v_mul_f32_e32 v152, v152, v44                              // 000000007260: 0B305998
	v_mul_f32_e32 v153, v153, v45                              // 000000007264: 0B325B99
	v_mul_f32_e32 v154, v154, v46                              // 000000007268: 0B345D9A
	v_mul_f32_e32 v155, v155, v47                              // 00000000726C: 0B365F9B
	buffer_load_dwordx4 a[56:59], v38, s[12:15], 0 offen       // 000000007270: E05C1000 80833826
	v_mul_f32_e32 v44, v156, v156                              // 000000007278: 0A59399C
	v_mul_f32_e32 v45, v157, v157                              // 00000000727C: 0A5B3B9D
	v_mul_f32_e32 v46, v158, v158                              // 000000007280: 0A5D3D9E
	v_mul_f32_e32 v47, v159, v159                              // 000000007284: 0A5F3F9F
	v_fma_f32 v44, v44, s77, v1                                // 000000007288: D1CB002C 04049B2C
	v_fma_f32 v45, v45, s77, v1                                // 000000007290: D1CB002D 04049B2D
	v_fma_f32 v46, v46, s77, v1                                // 000000007298: D1CB002E 04049B2E
	v_fma_f32 v47, v47, s77, v1                                // 0000000072A0: D1CB002F 04049B2F
	v_mul_f32_e32 v44, v44, v156                               // 0000000072A8: 0A59392C
	v_mul_f32_e32 v45, v45, v157                               // 0000000072AC: 0A5B3B2D
	v_mul_f32_e32 v46, v46, v158                               // 0000000072B0: 0A5D3D2E
	v_mul_f32_e32 v47, v47, v159                               // 0000000072B4: 0A5F3F2F
	v_mul_f32_e64 v44, v44, s6                                 // 0000000072B8: D105002C 00000D2C
	v_mul_f32_e64 v45, v45, s6                                 // 0000000072C0: D105002D 00000D2D
	v_mul_f32_e64 v46, v46, s6                                 // 0000000072C8: D105002E 00000D2E
	v_mul_f32_e64 v47, v47, s6                                 // 0000000072D0: D105002F 00000D2F
	v_exp_f32_e32 v44, v44                                     // 0000000072D8: 7E58412C
	v_exp_f32_e32 v45, v45                                     // 0000000072DC: 7E5A412D
	v_exp_f32_e32 v46, v46                                     // 0000000072E0: 7E5C412E
	v_exp_f32_e32 v47, v47                                     // 0000000072E4: 7E5E412F
	buffer_load_dwordx4 a[60:63], v39, s[12:15], 0 offen       // 0000000072E8: E05C1000 80833C27
	v_add_f32_e64 v44, v44, 1.0                                // 0000000072F0: D101002C 0001E52C
	v_add_f32_e64 v45, v45, 1.0                                // 0000000072F8: D101002D 0001E52D
	v_add_f32_e64 v46, v46, 1.0                                // 000000007300: D101002E 0001E52E
	v_add_f32_e64 v47, v47, 1.0                                // 000000007308: D101002F 0001E52F
	v_rcp_f32_e32 v44, v44                                     // 000000007310: 7E58452C
	v_rcp_f32_e32 v45, v45                                     // 000000007314: 7E5A452D
	v_rcp_f32_e32 v46, v46                                     // 000000007318: 7E5C452E
	v_rcp_f32_e32 v47, v47                                     // 00000000731C: 7E5E452F
	v_mul_f32_e32 v156, v156, v44                              // 000000007320: 0B38599C
	v_mul_f32_e32 v157, v157, v45                              // 000000007324: 0B3A5B9D
	v_mul_f32_e32 v158, v158, v46                              // 000000007328: 0B3C5D9E
	v_mul_f32_e32 v159, v159, v47                              // 00000000732C: 0B3E5F9F
	v_mul_f32_dpp v128, v16, v128 row_newbcast:0 row_mask:0xf bank_mask:0xf// 000000007330: 0B0100FA FF015010
	v_mul_f32_dpp v129, v16, v129 row_newbcast:1 row_mask:0xf bank_mask:0xf// 000000007338: 0B0302FA FF015110
	v_mul_f32_dpp v130, v16, v130 row_newbcast:2 row_mask:0xf bank_mask:0xf// 000000007340: 0B0504FA FF015210
	v_mul_f32_dpp v131, v16, v131 row_newbcast:3 row_mask:0xf bank_mask:0xf// 000000007348: 0B0706FA FF015310
	v_mul_f32_dpp v132, v16, v132 row_newbcast:0 row_mask:0xf bank_mask:0xf// 000000007350: 0B0908FA FF015010
	v_mul_f32_dpp v133, v16, v133 row_newbcast:1 row_mask:0xf bank_mask:0xf// 000000007358: 0B0B0AFA FF015110
	v_mul_f32_dpp v134, v16, v134 row_newbcast:2 row_mask:0xf bank_mask:0xf// 000000007360: 0B0D0CFA FF015210
	v_mul_f32_dpp v135, v16, v135 row_newbcast:3 row_mask:0xf bank_mask:0xf// 000000007368: 0B0F0EFA FF015310
	v_mul_f32_dpp v136, v16, v136 row_newbcast:4 row_mask:0xf bank_mask:0xf// 000000007370: 0B1110FA FF015410
	v_mul_f32_dpp v137, v16, v137 row_newbcast:5 row_mask:0xf bank_mask:0xf// 000000007378: 0B1312FA FF015510
	v_mul_f32_dpp v138, v16, v138 row_newbcast:6 row_mask:0xf bank_mask:0xf// 000000007380: 0B1514FA FF015610
	v_mul_f32_dpp v139, v16, v139 row_newbcast:7 row_mask:0xf bank_mask:0xf// 000000007388: 0B1716FA FF015710
	v_mul_f32_dpp v140, v16, v140 row_newbcast:4 row_mask:0xf bank_mask:0xf// 000000007390: 0B1918FA FF015410
	v_mul_f32_dpp v141, v16, v141 row_newbcast:5 row_mask:0xf bank_mask:0xf// 000000007398: 0B1B1AFA FF015510
	v_mul_f32_dpp v142, v16, v142 row_newbcast:6 row_mask:0xf bank_mask:0xf// 0000000073A0: 0B1D1CFA FF015610
	v_mul_f32_dpp v143, v16, v143 row_newbcast:7 row_mask:0xf bank_mask:0xf// 0000000073A8: 0B1F1EFA FF015710
	v_mul_f32_dpp v144, v16, v144 row_newbcast:8 row_mask:0xf bank_mask:0xf// 0000000073B0: 0B2120FA FF015810
	v_mul_f32_dpp v145, v16, v145 row_newbcast:9 row_mask:0xf bank_mask:0xf// 0000000073B8: 0B2322FA FF015910
	v_mul_f32_dpp v146, v16, v146 row_newbcast:10 row_mask:0xf bank_mask:0xf// 0000000073C0: 0B2524FA FF015A10
	v_mul_f32_dpp v147, v16, v147 row_newbcast:11 row_mask:0xf bank_mask:0xf// 0000000073C8: 0B2726FA FF015B10
	v_mul_f32_dpp v148, v16, v148 row_newbcast:8 row_mask:0xf bank_mask:0xf// 0000000073D0: 0B2928FA FF015810
	v_mul_f32_dpp v149, v16, v149 row_newbcast:9 row_mask:0xf bank_mask:0xf// 0000000073D8: 0B2B2AFA FF015910
	v_mul_f32_dpp v150, v16, v150 row_newbcast:10 row_mask:0xf bank_mask:0xf// 0000000073E0: 0B2D2CFA FF015A10
	v_mul_f32_dpp v151, v16, v151 row_newbcast:11 row_mask:0xf bank_mask:0xf// 0000000073E8: 0B2F2EFA FF015B10
	v_mul_f32_dpp v152, v16, v152 row_newbcast:12 row_mask:0xf bank_mask:0xf// 0000000073F0: 0B3130FA FF015C10
	v_mul_f32_dpp v153, v16, v153 row_newbcast:13 row_mask:0xf bank_mask:0xf// 0000000073F8: 0B3332FA FF015D10
	v_mul_f32_dpp v154, v16, v154 row_newbcast:14 row_mask:0xf bank_mask:0xf// 000000007400: 0B3534FA FF015E10
	v_mul_f32_dpp v155, v16, v155 row_newbcast:15 row_mask:0xf bank_mask:0xf// 000000007408: 0B3736FA FF015F10
	v_mul_f32_dpp v156, v16, v156 row_newbcast:12 row_mask:0xf bank_mask:0xf// 000000007410: 0B3938FA FF015C10
	v_mul_f32_dpp v157, v16, v157 row_newbcast:13 row_mask:0xf bank_mask:0xf// 000000007418: 0B3B3AFA FF015D10
	v_mul_f32_dpp v158, v16, v158 row_newbcast:14 row_mask:0xf bank_mask:0xf// 000000007420: 0B3D3CFA FF015E10
	v_mul_f32_dpp v159, v16, v159 row_newbcast:15 row_mask:0xf bank_mask:0xf// 000000007428: 0B3F3EFA FF015F10
	buffer_load_dword v11, v5, s[16:19], 0 offen               // 000000007430: E0501000 80040B05
	v_mov_b32_e32 v20, 0x358637bd                              // 000000007438: 7E2802FF 358637BD
	v_mov_b32_e32 v21, 0x358637bd                              // 000000007440: 7E2A02FF 358637BD
	v_max3_f32 v20, |v128|, |v129|, v20                        // 000000007448: D1D30314 04530380
	v_max3_f32 v20, |v130|, |v131|, v20                        // 000000007450: D1D30314 04530782
	v_max3_f32 v21, |v132|, |v133|, v21                        // 000000007458: D1D30315 04570B84
	v_max3_f32 v21, |v134|, |v135|, v21                        // 000000007460: D1D30315 04570F86
	v_max3_f32 v20, |v136|, |v137|, v20                        // 000000007468: D1D30314 04531388
	v_max3_f32 v20, |v138|, |v139|, v20                        // 000000007470: D1D30314 0453178A
	v_max3_f32 v21, |v140|, |v141|, v21                        // 000000007478: D1D30315 04571B8C
	v_max3_f32 v21, |v142|, |v143|, v21                        // 000000007480: D1D30315 04571F8E
	v_max3_f32 v20, |v144|, |v145|, v20                        // 000000007488: D1D30314 04532390
	v_max3_f32 v20, |v146|, |v147|, v20                        // 000000007490: D1D30314 04532792
	v_max3_f32 v21, |v148|, |v149|, v21                        // 000000007498: D1D30315 04572B94
	v_max3_f32 v21, |v150|, |v151|, v21                        // 0000000074A0: D1D30315 04572F96
	v_max3_f32 v20, |v152|, |v153|, v20                        // 0000000074A8: D1D30314 04533398
	v_max3_f32 v20, |v154|, |v155|, v20                        // 0000000074B0: D1D30314 0453379A
	v_max3_f32 v21, |v156|, |v157|, v21                        // 0000000074B8: D1D30315 04573B9C
	v_max3_f32 v21, |v158|, |v159|, v21                        // 0000000074C0: D1D30315 04573F9E
	v_lshlrev_b32_e32 v44, 3, v0                               // 0000000074C8: 24580083
	s_mul_i32 s60, 0x200, s7                                   // 0000000074CC: 923C07FF 00000200
	v_add_u32_e32 v44, s60, v44                                // 0000000074D4: 6858583C
	ds_write_b64 v44, v[20:21] offset:16640                    // 0000000074D8: D89A4100 0000142C
	s_waitcnt lgkmcnt(0)                                       // 0000000074E0: BF8CC07F
	s_barrier                                                  // 0000000074E4: BF8A0000
	v_and_b32_e32 v44, 15, v0                                  // 0000000074E8: 2658008F
	v_lshlrev_b32_e32 v44, 3, v44                              // 0000000074EC: 24585883
	ds_read_b64 v[96:97], v44 offset:16640                     // 0000000074F0: D8EC4100 6000002C
	ds_read_b64 v[98:99], v44 offset:16768                     // 0000000074F8: D8EC4180 6200002C
	ds_read_b64 v[100:101], v44 offset:16896                   // 000000007500: D8EC4200 6400002C
	ds_read_b64 v[102:103], v44 offset:17024                   // 000000007508: D8EC4280 6600002C
	ds_read_b64 v[104:105], v44 offset:17152                   // 000000007510: D8EC4300 6800002C
	ds_read_b64 v[106:107], v44 offset:17280                   // 000000007518: D8EC4380 6A00002C
	ds_read_b64 v[108:109], v44 offset:17408                   // 000000007520: D8EC4400 6C00002C
	ds_read_b64 v[110:111], v44 offset:17536                   // 000000007528: D8EC4480 6E00002C
	ds_read_b64 v[112:113], v44 offset:17664                   // 000000007530: D8EC4500 7000002C
	ds_read_b64 v[114:115], v44 offset:17792                   // 000000007538: D8EC4580 7200002C
	ds_read_b64 v[116:117], v44 offset:17920                   // 000000007540: D8EC4600 7400002C
	ds_read_b64 v[118:119], v44 offset:18048                   // 000000007548: D8EC4680 7600002C
	ds_read_b64 v[120:121], v44 offset:18176                   // 000000007550: D8EC4700 7800002C
	ds_read_b64 v[122:123], v44 offset:18304                   // 000000007558: D8EC4780 7A00002C
	ds_read_b64 v[124:125], v44 offset:18432                   // 000000007560: D8EC4800 7C00002C
	ds_read_b64 v[126:127], v44 offset:18560                   // 000000007568: D8EC4880 7E00002C
	s_waitcnt lgkmcnt(0)                                       // 000000007570: BF8CC07F
	v_max3_f32 v20, |v96|, |v98|, v20                          // 000000007574: D1D30314 0452C560
	v_max3_f32 v21, |v97|, |v99|, v21                          // 00000000757C: D1D30315 0456C761
	v_max3_f32 v20, |v100|, |v102|, v20                        // 000000007584: D1D30314 0452CD64
	v_max3_f32 v21, |v101|, |v103|, v21                        // 00000000758C: D1D30315 0456CF65
	v_max3_f32 v20, |v104|, |v106|, v20                        // 000000007594: D1D30314 0452D568
	v_max3_f32 v21, |v105|, |v107|, v21                        // 00000000759C: D1D30315 0456D769
	v_max3_f32 v20, |v108|, |v110|, v20                        // 0000000075A4: D1D30314 0452DD6C
	v_max3_f32 v21, |v109|, |v111|, v21                        // 0000000075AC: D1D30315 0456DF6D
	v_max3_f32 v20, |v112|, |v114|, v20                        // 0000000075B4: D1D30314 0452E570
	v_max3_f32 v21, |v113|, |v115|, v21                        // 0000000075BC: D1D30315 0456E771
	v_max3_f32 v20, |v116|, |v118|, v20                        // 0000000075C4: D1D30314 0452ED74
	v_max3_f32 v21, |v117|, |v119|, v21                        // 0000000075CC: D1D30315 0456EF75
	v_max3_f32 v20, |v120|, |v122|, v20                        // 0000000075D4: D1D30314 0452F578
	v_max3_f32 v21, |v121|, |v123|, v21                        // 0000000075DC: D1D30315 0456F779
	v_max3_f32 v20, |v124|, |v126|, v20                        // 0000000075E4: D1D30314 0452FD7C
	v_max3_f32 v21, |v125|, |v127|, v21                        // 0000000075EC: D1D30315 0456FF7D
	v_rcp_f32_e32 v20, v20                                     // 0000000075F4: 7E284514
	v_rcp_f32_e32 v21, v21                                     // 0000000075F8: 7E2A4515
	v_mul_f32_e32 v20, 0x42fe0000, v20                         // 0000000075FC: 0A2828FF 42FE0000
	v_mul_f32_e32 v21, 0x42fe0000, v21                         // 000000007604: 0A2A2AFF 42FE0000
	v_mul_f32_e32 v128, v20, v128                              // 00000000760C: 0B010114
	v_mul_f32_e32 v129, v20, v129                              // 000000007610: 0B030314
	v_mul_f32_e32 v130, v20, v130                              // 000000007614: 0B050514
	v_mul_f32_e32 v131, v20, v131                              // 000000007618: 0B070714
	v_cvt_i32_f32_e32 v128, v128                               // 00000000761C: 7F001180
	v_cvt_i32_f32_e32 v129, v129                               // 000000007620: 7F021181
	v_cvt_i32_f32_e32 v130, v130                               // 000000007624: 7F041182
	v_cvt_i32_f32_e32 v131, v131                               // 000000007628: 7F061183
	v_perm_b32 v128, v129, v128, s53                           // 00000000762C: D1ED0080 00D70181
	v_perm_b32 v128, v130, v128, s54                           // 000000007634: D1ED0080 00DB0182
	v_perm_b32 v128, v131, v128, s55                           // 00000000763C: D1ED0080 00DF0183
	v_mul_f32_e32 v132, v21, v132                              // 000000007644: 0B090915
	v_mul_f32_e32 v133, v21, v133                              // 000000007648: 0B0B0B15
	v_mul_f32_e32 v134, v21, v134                              // 00000000764C: 0B0D0D15
	v_mul_f32_e32 v135, v21, v135                              // 000000007650: 0B0F0F15
	v_cvt_i32_f32_e32 v132, v132                               // 000000007654: 7F081184
	v_cvt_i32_f32_e32 v133, v133                               // 000000007658: 7F0A1185
	v_cvt_i32_f32_e32 v134, v134                               // 00000000765C: 7F0C1186
	v_cvt_i32_f32_e32 v135, v135                               // 000000007660: 7F0E1187
	v_perm_b32 v129, v133, v132, s53                           // 000000007664: D1ED0081 00D70985
	v_perm_b32 v129, v134, v129, s54                           // 00000000766C: D1ED0081 00DB0386
	v_perm_b32 v129, v135, v129, s55                           // 000000007674: D1ED0081 00DF0387
	v_mul_f32_e32 v136, v20, v136                              // 00000000767C: 0B111114
	v_mul_f32_e32 v137, v20, v137                              // 000000007680: 0B131314
	v_mul_f32_e32 v138, v20, v138                              // 000000007684: 0B151514
	v_mul_f32_e32 v139, v20, v139                              // 000000007688: 0B171714
	v_cvt_i32_f32_e32 v136, v136                               // 00000000768C: 7F101188
	v_cvt_i32_f32_e32 v137, v137                               // 000000007690: 7F121189
	v_cvt_i32_f32_e32 v138, v138                               // 000000007694: 7F14118A
	v_cvt_i32_f32_e32 v139, v139                               // 000000007698: 7F16118B
	v_perm_b32 v130, v137, v136, s53                           // 00000000769C: D1ED0082 00D71189
	v_perm_b32 v130, v138, v130, s54                           // 0000000076A4: D1ED0082 00DB058A
	v_perm_b32 v130, v139, v130, s55                           // 0000000076AC: D1ED0082 00DF058B
	v_mul_f32_e32 v140, v21, v140                              // 0000000076B4: 0B191915
	v_mul_f32_e32 v141, v21, v141                              // 0000000076B8: 0B1B1B15
	v_mul_f32_e32 v142, v21, v142                              // 0000000076BC: 0B1D1D15
	v_mul_f32_e32 v143, v21, v143                              // 0000000076C0: 0B1F1F15
	v_cvt_i32_f32_e32 v140, v140                               // 0000000076C4: 7F18118C
	v_cvt_i32_f32_e32 v141, v141                               // 0000000076C8: 7F1A118D
	v_cvt_i32_f32_e32 v142, v142                               // 0000000076CC: 7F1C118E
	v_cvt_i32_f32_e32 v143, v143                               // 0000000076D0: 7F1E118F
	v_perm_b32 v131, v141, v140, s53                           // 0000000076D4: D1ED0083 00D7198D
	v_perm_b32 v131, v142, v131, s54                           // 0000000076DC: D1ED0083 00DB078E
	v_perm_b32 v131, v143, v131, s55                           // 0000000076E4: D1ED0083 00DF078F
	v_mul_f32_e32 v144, v20, v144                              // 0000000076EC: 0B212114
	v_mul_f32_e32 v145, v20, v145                              // 0000000076F0: 0B232314
	v_mul_f32_e32 v146, v20, v146                              // 0000000076F4: 0B252514
	v_mul_f32_e32 v147, v20, v147                              // 0000000076F8: 0B272714
	v_cvt_i32_f32_e32 v144, v144                               // 0000000076FC: 7F201190
	v_cvt_i32_f32_e32 v145, v145                               // 000000007700: 7F221191
	v_cvt_i32_f32_e32 v146, v146                               // 000000007704: 7F241192
	v_cvt_i32_f32_e32 v147, v147                               // 000000007708: 7F261193
	v_perm_b32 v132, v145, v144, s53                           // 00000000770C: D1ED0084 00D72191
	v_perm_b32 v132, v146, v132, s54                           // 000000007714: D1ED0084 00DB0992
	v_perm_b32 v132, v147, v132, s55                           // 00000000771C: D1ED0084 00DF0993
	v_mul_f32_e32 v148, v21, v148                              // 000000007724: 0B292915
	v_mul_f32_e32 v149, v21, v149                              // 000000007728: 0B2B2B15
	v_mul_f32_e32 v150, v21, v150                              // 00000000772C: 0B2D2D15
	v_mul_f32_e32 v151, v21, v151                              // 000000007730: 0B2F2F15
	v_cvt_i32_f32_e32 v148, v148                               // 000000007734: 7F281194
	v_cvt_i32_f32_e32 v149, v149                               // 000000007738: 7F2A1195
	v_cvt_i32_f32_e32 v150, v150                               // 00000000773C: 7F2C1196
	v_cvt_i32_f32_e32 v151, v151                               // 000000007740: 7F2E1197
	v_perm_b32 v133, v149, v148, s53                           // 000000007744: D1ED0085 00D72995
	v_perm_b32 v133, v150, v133, s54                           // 00000000774C: D1ED0085 00DB0B96
	v_perm_b32 v133, v151, v133, s55                           // 000000007754: D1ED0085 00DF0B97
	v_mul_f32_e32 v152, v20, v152                              // 00000000775C: 0B313114
	v_mul_f32_e32 v153, v20, v153                              // 000000007760: 0B333314
	v_mul_f32_e32 v154, v20, v154                              // 000000007764: 0B353514
	v_mul_f32_e32 v155, v20, v155                              // 000000007768: 0B373714
	v_cvt_i32_f32_e32 v152, v152                               // 00000000776C: 7F301198
	v_cvt_i32_f32_e32 v153, v153                               // 000000007770: 7F321199
	v_cvt_i32_f32_e32 v154, v154                               // 000000007774: 7F34119A
	v_cvt_i32_f32_e32 v155, v155                               // 000000007778: 7F36119B
	v_perm_b32 v134, v153, v152, s53                           // 00000000777C: D1ED0086 00D73199
	v_perm_b32 v134, v154, v134, s54                           // 000000007784: D1ED0086 00DB0D9A
	v_perm_b32 v134, v155, v134, s55                           // 00000000778C: D1ED0086 00DF0D9B
	v_mul_f32_e32 v156, v21, v156                              // 000000007794: 0B393915
	v_mul_f32_e32 v157, v21, v157                              // 000000007798: 0B3B3B15
	v_mul_f32_e32 v158, v21, v158                              // 00000000779C: 0B3D3D15
	v_mul_f32_e32 v159, v21, v159                              // 0000000077A0: 0B3F3F15
	v_cvt_i32_f32_e32 v156, v156                               // 0000000077A4: 7F38119C
	v_cvt_i32_f32_e32 v157, v157                               // 0000000077A8: 7F3A119D
	v_cvt_i32_f32_e32 v158, v158                               // 0000000077AC: 7F3C119E
	v_cvt_i32_f32_e32 v159, v159                               // 0000000077B0: 7F3E119F
	v_perm_b32 v135, v157, v156, s53                           // 0000000077B4: D1ED0087 00D7399D
	v_perm_b32 v135, v158, v135, s54                           // 0000000077BC: D1ED0087 00DB0F9E
	v_perm_b32 v135, v159, v135, s55                           // 0000000077C4: D1ED0087 00DF0F9F
	v_rcp_f32_e32 v22, v20                                     // 0000000077CC: 7E2C4514
	v_rcp_f32_e32 v23, v21                                     // 0000000077D0: 7E2E4515
	v_lshrrev_b32_e32 v44, 5, v0                               // 0000000077D4: 20580085
	v_lshlrev_b32_e32 v45, 5, v44                              // 0000000077D8: 245A5885
	v_and_b32_e32 v44, 31, v0                                  // 0000000077DC: 2658009F
	v_lshrrev_b32_e32 v46, 4, v44                              // 0000000077E0: 205C5884
	v_add_u32_e32 v45, v46, v45                                // 0000000077E4: 685A5B2E
	v_and_b32_e32 v44, 15, v0                                  // 0000000077E8: 2658008F
	v_lshlrev_b32_e32 v44, 1, v44                              // 0000000077EC: 24585881
	v_add_u32_e32 v45, v44, v45                                // 0000000077F0: 685A5B2C
	v_lshlrev_b32_e32 v44, 2, v45                              // 0000000077F4: 24585A82
	s_mul_i32 s60, 0x100, s7                                   // 0000000077F8: 923C07FF 00000100
	v_add_u32_e64 v44, v44, s60                                // 000000007800: D134002C 0000792C
	ds_write_b32 v44, v128 offset:18688                        // 000000007808: D81A4900 0000802C
	ds_write_b32 v44, v129 offset:22784                        // 000000007810: D81A5900 0000812C
	ds_write_b32 v44, v130 offset:19712                        // 000000007818: D81A4D00 0000822C
	ds_write_b32 v44, v131 offset:23808                        // 000000007820: D81A5D00 0000832C
	ds_write_b32 v44, v132 offset:20736                        // 000000007828: D81A5100 0000842C
	ds_write_b32 v44, v133 offset:24832                        // 000000007830: D81A6100 0000852C
	ds_write_b32 v44, v134 offset:21760                        // 000000007838: D81A5500 0000862C
	ds_write_b32 v44, v135 offset:25856                        // 000000007840: D81A6500 0000872C
	s_waitcnt lgkmcnt(0)                                       // 000000007848: BF8CC07F
	s_barrier                                                  // 00000000784C: BF8A0000
	v_lshrrev_b32_e32 v44, 4, v0                               // 000000007850: 20580084
	v_lshlrev_b32_e32 v45, 6, v44                              // 000000007854: 245A5886
	v_and_b32_e32 v44, 15, v0                                  // 000000007858: 2658008F
	v_lshlrev_b32_e32 v44, 1, v44                              // 00000000785C: 24585881
	v_add_u32_e32 v45, v44, v45                                // 000000007860: 685A5B2C
	v_lshlrev_b32_e32 v44, 2, v45                              // 000000007864: 24585A82
	ds_read_b64 v[128:129], v44 offset:18688                   // 000000007868: D8EC4900 8000002C
	ds_read_b64 v[130:131], v44 offset:18816                   // 000000007870: D8EC4980 8200002C
	ds_read_b64 v[132:133], v44 offset:19712                   // 000000007878: D8EC4D00 8400002C
	ds_read_b64 v[134:135], v44 offset:19840                   // 000000007880: D8EC4D80 8600002C
	ds_read_b64 v[136:137], v44 offset:20736                   // 000000007888: D8EC5100 8800002C
	ds_read_b64 v[138:139], v44 offset:20864                   // 000000007890: D8EC5180 8A00002C
	ds_read_b64 v[140:141], v44 offset:21760                   // 000000007898: D8EC5500 8C00002C
	ds_read_b64 v[142:143], v44 offset:21888                   // 0000000078A0: D8EC5580 8E00002C
	ds_read_b64 v[144:145], v44 offset:22784                   // 0000000078A8: D8EC5900 9000002C
	ds_read_b64 v[146:147], v44 offset:22912                   // 0000000078B0: D8EC5980 9200002C
	ds_read_b64 v[148:149], v44 offset:23808                   // 0000000078B8: D8EC5D00 9400002C
	ds_read_b64 v[150:151], v44 offset:23936                   // 0000000078C0: D8EC5D80 9600002C
	ds_read_b64 v[152:153], v44 offset:24832                   // 0000000078C8: D8EC6100 9800002C
	ds_read_b64 v[154:155], v44 offset:24960                   // 0000000078D0: D8EC6180 9A00002C
	ds_read_b64 v[156:157], v44 offset:25856                   // 0000000078D8: D8EC6500 9C00002C
	ds_read_b64 v[158:159], v44 offset:25984                   // 0000000078E0: D8EC6580 9E00002C
	s_add_u32 s12, s56, s12                                    // 0000000078E8: 800C0C38
	s_addc_u32 s13, 0, s13                                     // 0000000078EC: 820D0D80
	s_add_u32 s16, s79, s16                                    // 0000000078F0: 8010104F
	s_addc_u32 s17, 0, s17                                     // 0000000078F4: 82111180
	s_mov_b32 s80, 0                                           // 0000000078F8: BED00080
	s_waitcnt vmcnt(0) expcnt(0) lgkmcnt(0)                    // 0000000078FC: BF8C0000

0000000000007900 <label_12C0>:
	s_waitcnt vmcnt(29)                                        // 000000007900: BF8C4F7D
	s_barrier                                                  // 000000007904: BF8A0000
	v_mfma_i32_16x16x32_i8 v[160:163], a[0:1], v[128:129], 0   // 000000007908: D3D700A0 0A030100
	buffer_load_dwordx4 a[64:67], v36, s[12:15], 0 offen       // 000000007910: E05C1000 80834024
	v_mfma_i32_16x16x32_i8 v[160:163], a[2:3], v[130:131], v[160:163]// 000000007918: D3D700A0 0E830502
	v_mfma_i32_16x16x32_i8 v[164:167], a[0:1], v[144:145], 0   // 000000007920: D3D700A4 0A032100
	v_mfma_i32_16x16x32_i8 v[164:167], a[2:3], v[146:147], v[164:167]// 000000007928: D3D700A4 0E932502
	v_mfma_i32_16x16x32_i8 v[168:171], a[4:5], v[128:129], 0   // 000000007930: D3D700A8 0A030104
	buffer_load_dwordx4 a[68:71], v37, s[12:15], 0 offen       // 000000007938: E05C1000 80834425
	v_mfma_i32_16x16x32_i8 v[168:171], a[6:7], v[130:131], v[168:171]// 000000007940: D3D700A8 0EA30506
	v_mfma_i32_16x16x32_i8 v[172:175], a[4:5], v[144:145], 0   // 000000007948: D3D700AC 0A032104
	v_mfma_i32_16x16x32_i8 v[172:175], a[6:7], v[146:147], v[172:175]// 000000007950: D3D700AC 0EB32506
	v_mfma_i32_16x16x32_i8 v[176:179], a[8:9], v[128:129], 0   // 000000007958: D3D700B0 0A030108
	buffer_load_dwordx4 a[72:75], v38, s[12:15], 0 offen       // 000000007960: E05C1000 80834826
	v_mfma_i32_16x16x32_i8 v[176:179], a[10:11], v[130:131], v[176:179]// 000000007968: D3D700B0 0EC3050A
	v_mfma_i32_16x16x32_i8 v[180:183], a[8:9], v[144:145], 0   // 000000007970: D3D700B4 0A032108
	v_mfma_i32_16x16x32_i8 v[180:183], a[10:11], v[146:147], v[180:183]// 000000007978: D3D700B4 0ED3250A
	v_mfma_i32_16x16x32_i8 v[184:187], a[12:13], v[128:129], 0 // 000000007980: D3D700B8 0A03010C
	buffer_load_dwordx4 a[76:79], v39, s[12:15], 0 offen       // 000000007988: E05C1000 80834C27
	s_add_u32 s12, s78, s12                                    // 000000007990: 800C0C4E
	s_addc_u32 s13, 0, s13                                     // 000000007994: 820D0D80
	v_mfma_i32_16x16x32_i8 v[184:187], a[14:15], v[130:131], v[184:187]// 000000007998: D3D700B8 0EE3050E
	v_mfma_i32_16x16x32_i8 v[188:191], a[12:13], v[144:145], 0 // 0000000079A0: D3D700BC 0A03210C
	v_mfma_i32_16x16x32_i8 v[188:191], a[14:15], v[146:147], v[188:191]// 0000000079A8: D3D700BC 0EF3250E
	s_waitcnt vmcnt(29)                                        // 0000000079B0: BF8C4F7D
	v_mfma_i32_16x16x32_i8 v[160:163], a[16:17], v[132:133], v[160:163]// 0000000079B4: D3D700A0 0E830910
	buffer_load_dwordx4 a[80:83], v36, s[12:15], 0 offen       // 0000000079BC: E05C1000 80835024
	v_mfma_i32_16x16x32_i8 v[160:163], a[18:19], v[134:135], v[160:163]// 0000000079C4: D3D700A0 0E830D12
	v_mfma_i32_16x16x32_i8 v[164:167], a[16:17], v[148:149], v[164:167]// 0000000079CC: D3D700A4 0E932910
	v_mfma_i32_16x16x32_i8 v[164:167], a[18:19], v[150:151], v[164:167]// 0000000079D4: D3D700A4 0E932D12
	v_mfma_i32_16x16x32_i8 v[168:171], a[20:21], v[132:133], v[168:171]// 0000000079DC: D3D700A8 0EA30914
	buffer_load_dwordx4 a[84:87], v37, s[12:15], 0 offen       // 0000000079E4: E05C1000 80835425
	v_mfma_i32_16x16x32_i8 v[168:171], a[22:23], v[134:135], v[168:171]// 0000000079EC: D3D700A8 0EA30D16
	v_mfma_i32_16x16x32_i8 v[172:175], a[20:21], v[148:149], v[172:175]// 0000000079F4: D3D700AC 0EB32914
	v_mfma_i32_16x16x32_i8 v[172:175], a[22:23], v[150:151], v[172:175]// 0000000079FC: D3D700AC 0EB32D16
	v_mfma_i32_16x16x32_i8 v[176:179], a[24:25], v[132:133], v[176:179]// 000000007A04: D3D700B0 0EC30918
	buffer_load_dwordx4 a[88:91], v38, s[12:15], 0 offen       // 000000007A0C: E05C1000 80835826
	v_mfma_i32_16x16x32_i8 v[176:179], a[26:27], v[134:135], v[176:179]// 000000007A14: D3D700B0 0EC30D1A
	v_mfma_i32_16x16x32_i8 v[180:183], a[24:25], v[148:149], v[180:183]// 000000007A1C: D3D700B4 0ED32918
	v_mfma_i32_16x16x32_i8 v[180:183], a[26:27], v[150:151], v[180:183]// 000000007A24: D3D700B4 0ED32D1A
	v_mfma_i32_16x16x32_i8 v[184:187], a[28:29], v[132:133], v[184:187]// 000000007A2C: D3D700B8 0EE3091C
	buffer_load_dwordx4 a[92:95], v39, s[12:15], 0 offen       // 000000007A34: E05C1000 80835C27
	s_add_u32 s12, s78, s12                                    // 000000007A3C: 800C0C4E
	s_addc_u32 s13, 0, s13                                     // 000000007A40: 820D0D80
	v_mfma_i32_16x16x32_i8 v[184:187], a[30:31], v[134:135], v[184:187]// 000000007A44: D3D700B8 0EE30D1E
	v_mfma_i32_16x16x32_i8 v[188:191], a[28:29], v[148:149], v[188:191]// 000000007A4C: D3D700BC 0EF3291C
	v_mfma_i32_16x16x32_i8 v[188:191], a[30:31], v[150:151], v[188:191]// 000000007A54: D3D700BC 0EF32D1E
	s_waitcnt vmcnt(29)                                        // 000000007A5C: BF8C4F7D
	v_mfma_i32_16x16x32_i8 v[160:163], a[32:33], v[136:137], v[160:163]// 000000007A60: D3D700A0 0E831120
	buffer_load_dwordx4 a[96:99], v36, s[12:15], 0 offen       // 000000007A68: E05C1000 80836024
	v_mfma_i32_16x16x32_i8 v[160:163], a[34:35], v[138:139], v[160:163]// 000000007A70: D3D700A0 0E831522
	v_mfma_i32_16x16x32_i8 v[164:167], a[32:33], v[152:153], v[164:167]// 000000007A78: D3D700A4 0E933120
	v_mfma_i32_16x16x32_i8 v[164:167], a[34:35], v[154:155], v[164:167]// 000000007A80: D3D700A4 0E933522
	v_mfma_i32_16x16x32_i8 v[168:171], a[36:37], v[136:137], v[168:171]// 000000007A88: D3D700A8 0EA31124
	buffer_load_dwordx4 a[100:103], v37, s[12:15], 0 offen     // 000000007A90: E05C1000 80836425
	v_mfma_i32_16x16x32_i8 v[168:171], a[38:39], v[138:139], v[168:171]// 000000007A98: D3D700A8 0EA31526
	v_mfma_i32_16x16x32_i8 v[172:175], a[36:37], v[152:153], v[172:175]// 000000007AA0: D3D700AC 0EB33124
	v_mfma_i32_16x16x32_i8 v[172:175], a[38:39], v[154:155], v[172:175]// 000000007AA8: D3D700AC 0EB33526
	v_mfma_i32_16x16x32_i8 v[176:179], a[40:41], v[136:137], v[176:179]// 000000007AB0: D3D700B0 0EC31128
	buffer_load_dwordx4 a[104:107], v38, s[12:15], 0 offen     // 000000007AB8: E05C1000 80836826
	v_mfma_i32_16x16x32_i8 v[176:179], a[42:43], v[138:139], v[176:179]// 000000007AC0: D3D700B0 0EC3152A
	v_mfma_i32_16x16x32_i8 v[180:183], a[40:41], v[152:153], v[180:183]// 000000007AC8: D3D700B4 0ED33128
	v_mfma_i32_16x16x32_i8 v[180:183], a[42:43], v[154:155], v[180:183]// 000000007AD0: D3D700B4 0ED3352A
	v_mfma_i32_16x16x32_i8 v[184:187], a[44:45], v[136:137], v[184:187]// 000000007AD8: D3D700B8 0EE3112C
	buffer_load_dwordx4 a[108:111], v39, s[12:15], 0 offen     // 000000007AE0: E05C1000 80836C27
	s_add_u32 s12, s78, s12                                    // 000000007AE8: 800C0C4E
	s_addc_u32 s13, 0, s13                                     // 000000007AEC: 820D0D80
	v_mfma_i32_16x16x32_i8 v[184:187], a[46:47], v[138:139], v[184:187]// 000000007AF0: D3D700B8 0EE3152E
	v_mfma_i32_16x16x32_i8 v[188:191], a[44:45], v[152:153], v[188:191]// 000000007AF8: D3D700BC 0EF3312C
	v_mfma_i32_16x16x32_i8 v[188:191], a[46:47], v[154:155], v[188:191]// 000000007B00: D3D700BC 0EF3352E
	s_waitcnt vmcnt(28)                                        // 000000007B08: BF8C4F7C
	v_mfma_i32_16x16x32_i8 v[160:163], a[48:49], v[140:141], v[160:163]// 000000007B0C: D3D700A0 0E831930
	buffer_load_dwordx4 a[112:115], v36, s[12:15], 0 offen     // 000000007B14: E05C1000 80837024
	v_mfma_i32_16x16x32_i8 v[160:163], a[50:51], v[142:143], v[160:163]// 000000007B1C: D3D700A0 0E831D32
	v_mfma_i32_16x16x32_i8 v[164:167], a[48:49], v[156:157], v[164:167]// 000000007B24: D3D700A4 0E933930
	buffer_load_dword v12, v5, s[16:19], 0 offen               // 000000007B2C: E0501000 80040C05
	v_mfma_i32_16x16x32_i8 v[164:167], a[50:51], v[158:159], v[164:167]// 000000007B34: D3D700A4 0E933D32
	v_mfma_i32_16x16x32_i8 v[168:171], a[52:53], v[140:141], v[168:171]// 000000007B3C: D3D700A8 0EA31934
	buffer_load_dwordx4 a[116:119], v37, s[12:15], 0 offen     // 000000007B44: E05C1000 80837425
	v_mfma_i32_16x16x32_i8 v[168:171], a[54:55], v[142:143], v[168:171]// 000000007B4C: D3D700A8 0EA31D36
	v_mfma_i32_16x16x32_i8 v[172:175], a[52:53], v[156:157], v[172:175]// 000000007B54: D3D700AC 0EB33934
	v_mfma_i32_16x16x32_i8 v[172:175], a[54:55], v[158:159], v[172:175]// 000000007B5C: D3D700AC 0EB33D36
	v_mfma_i32_16x16x32_i8 v[176:179], a[56:57], v[140:141], v[176:179]// 000000007B64: D3D700B0 0EC31938
	buffer_load_dwordx4 a[120:123], v38, s[12:15], 0 offen     // 000000007B6C: E05C1000 80837826
	v_mfma_i32_16x16x32_i8 v[176:179], a[58:59], v[142:143], v[176:179]// 000000007B74: D3D700B0 0EC31D3A
	v_mfma_i32_16x16x32_i8 v[180:183], a[56:57], v[156:157], v[180:183]// 000000007B7C: D3D700B4 0ED33938
	v_mfma_i32_16x16x32_i8 v[180:183], a[58:59], v[158:159], v[180:183]// 000000007B84: D3D700B4 0ED33D3A
	v_mfma_i32_16x16x32_i8 v[184:187], a[60:61], v[140:141], v[184:187]// 000000007B8C: D3D700B8 0EE3193C
	buffer_load_dwordx4 a[124:127], v39, s[12:15], 0 offen     // 000000007B94: E05C1000 80837C27
	v_mfma_i32_16x16x32_i8 v[184:187], a[62:63], v[142:143], v[184:187]// 000000007B9C: D3D700B8 0EE31D3E
	v_mfma_i32_16x16x32_i8 v[188:191], a[60:61], v[156:157], v[188:191]// 000000007BA4: D3D700BC 0EF3393C
	v_mfma_i32_16x16x32_i8 v[188:191], a[62:63], v[158:159], v[188:191]// 000000007BAC: D3D700BC 0EF33D3E
	s_add_u32 s60, 0x200, s80                                  // 000000007BB4: 803C50FF 00000200
	s_cmp_lt_u32 s60, s81                                      // 000000007BBC: BF0A513C
	s_cselect_b32 s56, s56, 0                                  // 000000007BC0: 85388038
	s_cselect_b32 s78, s78, 0                                  // 000000007BC4: 854E804E
	s_cselect_b32 s79, s79, 0                                  // 000000007BC8: 854F804F
	s_add_u32 s12, s56, s12                                    // 000000007BCC: 800C0C38
	s_addc_u32 s13, 0, s13                                     // 000000007BD0: 820D0D80
	s_add_u32 s16, s79, s16                                    // 000000007BD4: 8010104F
	s_addc_u32 s17, 0, s17                                     // 000000007BD8: 82111180
	v_cvt_f32_i32_e32 v160, v160                               // 000000007BDC: 7F400BA0
	v_cvt_f32_i32_e32 v161, v161                               // 000000007BE0: 7F420BA1
	v_cvt_f32_i32_e32 v162, v162                               // 000000007BE4: 7F440BA2
	v_cvt_f32_i32_e32 v163, v163                               // 000000007BE8: 7F460BA3
	v_mul_f32_e32 v160, v22, v160                              // 000000007BEC: 0B414116
	v_mul_f32_e32 v161, v22, v161                              // 000000007BF0: 0B434316
	v_mul_f32_e32 v162, v22, v162                              // 000000007BF4: 0B454516
	v_mul_f32_e32 v163, v22, v163                              // 000000007BF8: 0B474716
	v_mul_f32_dpp v160, v11, v160 row_newbcast:0 row_mask:0xf bank_mask:0xf// 000000007BFC: 0B4140FA FF01500B
	v_mul_f32_dpp v161, v11, v161 row_newbcast:1 row_mask:0xf bank_mask:0xf// 000000007C04: 0B4342FA FF01510B
	v_mul_f32_dpp v162, v11, v162 row_newbcast:2 row_mask:0xf bank_mask:0xf// 000000007C0C: 0B4544FA FF01520B
	v_mul_f32_dpp v163, v11, v163 row_newbcast:3 row_mask:0xf bank_mask:0xf// 000000007C14: 0B4746FA FF01530B
	v_mul_f32_e32 v160, v17, v160                              // 000000007C1C: 0B414111
	v_mul_f32_e32 v161, v17, v161                              // 000000007C20: 0B434311
	v_mul_f32_e32 v162, v17, v162                              // 000000007C24: 0B454511
	v_mul_f32_e32 v163, v17, v163                              // 000000007C28: 0B474711
	v_cvt_f32_i32_e32 v164, v164                               // 000000007C2C: 7F480BA4
	v_cvt_f32_i32_e32 v165, v165                               // 000000007C30: 7F4A0BA5
	v_cvt_f32_i32_e32 v166, v166                               // 000000007C34: 7F4C0BA6
	v_cvt_f32_i32_e32 v167, v167                               // 000000007C38: 7F4E0BA7
	v_mul_f32_e32 v164, v23, v164                              // 000000007C3C: 0B494917
	v_mul_f32_e32 v165, v23, v165                              // 000000007C40: 0B4B4B17
	v_mul_f32_e32 v166, v23, v166                              // 000000007C44: 0B4D4D17
	v_mul_f32_e32 v167, v23, v167                              // 000000007C48: 0B4F4F17
	v_mul_f32_dpp v164, v11, v164 row_newbcast:0 row_mask:0xf bank_mask:0xf// 000000007C4C: 0B4948FA FF01500B
	v_mul_f32_dpp v165, v11, v165 row_newbcast:1 row_mask:0xf bank_mask:0xf// 000000007C54: 0B4B4AFA FF01510B
	v_mul_f32_dpp v166, v11, v166 row_newbcast:2 row_mask:0xf bank_mask:0xf// 000000007C5C: 0B4D4CFA FF01520B
	v_mul_f32_dpp v167, v11, v167 row_newbcast:3 row_mask:0xf bank_mask:0xf// 000000007C64: 0B4F4EFA FF01530B
	v_mul_f32_e32 v164, v18, v164                              // 000000007C6C: 0B494912
	v_mul_f32_e32 v165, v18, v165                              // 000000007C70: 0B4B4B12
	v_mul_f32_e32 v166, v18, v166                              // 000000007C74: 0B4D4D12
	v_mul_f32_e32 v167, v18, v167                              // 000000007C78: 0B4F4F12
	v_cvt_f32_i32_e32 v168, v168                               // 000000007C7C: 7F500BA8
	v_cvt_f32_i32_e32 v169, v169                               // 000000007C80: 7F520BA9
	v_cvt_f32_i32_e32 v170, v170                               // 000000007C84: 7F540BAA
	v_cvt_f32_i32_e32 v171, v171                               // 000000007C88: 7F560BAB
	v_mul_f32_e32 v168, v22, v168                              // 000000007C8C: 0B515116
	v_mul_f32_e32 v169, v22, v169                              // 000000007C90: 0B535316
	v_mul_f32_e32 v170, v22, v170                              // 000000007C94: 0B555516
	v_mul_f32_e32 v171, v22, v171                              // 000000007C98: 0B575716
	v_mul_f32_dpp v168, v11, v168 row_newbcast:4 row_mask:0xf bank_mask:0xf// 000000007C9C: 0B5150FA FF01540B
	v_mul_f32_dpp v169, v11, v169 row_newbcast:5 row_mask:0xf bank_mask:0xf// 000000007CA4: 0B5352FA FF01550B
	v_mul_f32_dpp v170, v11, v170 row_newbcast:6 row_mask:0xf bank_mask:0xf// 000000007CAC: 0B5554FA FF01560B
	v_mul_f32_dpp v171, v11, v171 row_newbcast:7 row_mask:0xf bank_mask:0xf// 000000007CB4: 0B5756FA FF01570B
	v_mul_f32_e32 v168, v17, v168                              // 000000007CBC: 0B515111
	v_mul_f32_e32 v169, v17, v169                              // 000000007CC0: 0B535311
	v_mul_f32_e32 v170, v17, v170                              // 000000007CC4: 0B555511
	v_mul_f32_e32 v171, v17, v171                              // 000000007CC8: 0B575711
	v_cvt_f32_i32_e32 v172, v172                               // 000000007CCC: 7F580BAC
	v_cvt_f32_i32_e32 v173, v173                               // 000000007CD0: 7F5A0BAD
	v_cvt_f32_i32_e32 v174, v174                               // 000000007CD4: 7F5C0BAE
	v_cvt_f32_i32_e32 v175, v175                               // 000000007CD8: 7F5E0BAF
	v_mul_f32_e32 v172, v23, v172                              // 000000007CDC: 0B595917
	v_mul_f32_e32 v173, v23, v173                              // 000000007CE0: 0B5B5B17
	v_mul_f32_e32 v174, v23, v174                              // 000000007CE4: 0B5D5D17
	v_mul_f32_e32 v175, v23, v175                              // 000000007CE8: 0B5F5F17
	v_mul_f32_dpp v172, v11, v172 row_newbcast:4 row_mask:0xf bank_mask:0xf// 000000007CEC: 0B5958FA FF01540B
	v_mul_f32_dpp v173, v11, v173 row_newbcast:5 row_mask:0xf bank_mask:0xf// 000000007CF4: 0B5B5AFA FF01550B
	v_mul_f32_dpp v174, v11, v174 row_newbcast:6 row_mask:0xf bank_mask:0xf// 000000007CFC: 0B5D5CFA FF01560B
	v_mul_f32_dpp v175, v11, v175 row_newbcast:7 row_mask:0xf bank_mask:0xf// 000000007D04: 0B5F5EFA FF01570B
	v_mul_f32_e32 v172, v18, v172                              // 000000007D0C: 0B595912
	v_mul_f32_e32 v173, v18, v173                              // 000000007D10: 0B5B5B12
	v_mul_f32_e32 v174, v18, v174                              // 000000007D14: 0B5D5D12
	v_mul_f32_e32 v175, v18, v175                              // 000000007D18: 0B5F5F12
	v_cvt_f32_i32_e32 v176, v176                               // 000000007D1C: 7F600BB0
	v_cvt_f32_i32_e32 v177, v177                               // 000000007D20: 7F620BB1
	v_cvt_f32_i32_e32 v178, v178                               // 000000007D24: 7F640BB2
	v_cvt_f32_i32_e32 v179, v179                               // 000000007D28: 7F660BB3
	v_mul_f32_e32 v176, v22, v176                              // 000000007D2C: 0B616116
	v_mul_f32_e32 v177, v22, v177                              // 000000007D30: 0B636316
	v_mul_f32_e32 v178, v22, v178                              // 000000007D34: 0B656516
	v_mul_f32_e32 v179, v22, v179                              // 000000007D38: 0B676716
	v_mul_f32_dpp v176, v11, v176 row_newbcast:8 row_mask:0xf bank_mask:0xf// 000000007D3C: 0B6160FA FF01580B
	v_mul_f32_dpp v177, v11, v177 row_newbcast:9 row_mask:0xf bank_mask:0xf// 000000007D44: 0B6362FA FF01590B
	v_mul_f32_dpp v178, v11, v178 row_newbcast:10 row_mask:0xf bank_mask:0xf// 000000007D4C: 0B6564FA FF015A0B
	v_mul_f32_dpp v179, v11, v179 row_newbcast:11 row_mask:0xf bank_mask:0xf// 000000007D54: 0B6766FA FF015B0B
	v_mul_f32_e32 v176, v17, v176                              // 000000007D5C: 0B616111
	v_mul_f32_e32 v177, v17, v177                              // 000000007D60: 0B636311
	v_mul_f32_e32 v178, v17, v178                              // 000000007D64: 0B656511
	v_mul_f32_e32 v179, v17, v179                              // 000000007D68: 0B676711
	v_cvt_f32_i32_e32 v180, v180                               // 000000007D6C: 7F680BB4
	v_cvt_f32_i32_e32 v181, v181                               // 000000007D70: 7F6A0BB5
	v_cvt_f32_i32_e32 v182, v182                               // 000000007D74: 7F6C0BB6
	v_cvt_f32_i32_e32 v183, v183                               // 000000007D78: 7F6E0BB7
	v_mul_f32_e32 v180, v23, v180                              // 000000007D7C: 0B696917
	v_mul_f32_e32 v181, v23, v181                              // 000000007D80: 0B6B6B17
	v_mul_f32_e32 v182, v23, v182                              // 000000007D84: 0B6D6D17
	v_mul_f32_e32 v183, v23, v183                              // 000000007D88: 0B6F6F17
	v_mul_f32_dpp v180, v11, v180 row_newbcast:8 row_mask:0xf bank_mask:0xf// 000000007D8C: 0B6968FA FF01580B
	v_mul_f32_dpp v181, v11, v181 row_newbcast:9 row_mask:0xf bank_mask:0xf// 000000007D94: 0B6B6AFA FF01590B
	v_mul_f32_dpp v182, v11, v182 row_newbcast:10 row_mask:0xf bank_mask:0xf// 000000007D9C: 0B6D6CFA FF015A0B
	v_mul_f32_dpp v183, v11, v183 row_newbcast:11 row_mask:0xf bank_mask:0xf// 000000007DA4: 0B6F6EFA FF015B0B
	v_mul_f32_e32 v180, v18, v180                              // 000000007DAC: 0B696912
	v_mul_f32_e32 v181, v18, v181                              // 000000007DB0: 0B6B6B12
	v_mul_f32_e32 v182, v18, v182                              // 000000007DB4: 0B6D6D12
	v_mul_f32_e32 v183, v18, v183                              // 000000007DB8: 0B6F6F12
	v_cvt_f32_i32_e32 v184, v184                               // 000000007DBC: 7F700BB8
	v_cvt_f32_i32_e32 v185, v185                               // 000000007DC0: 7F720BB9
	v_cvt_f32_i32_e32 v186, v186                               // 000000007DC4: 7F740BBA
	v_cvt_f32_i32_e32 v187, v187                               // 000000007DC8: 7F760BBB
	v_mul_f32_e32 v184, v22, v184                              // 000000007DCC: 0B717116
	v_mul_f32_e32 v185, v22, v185                              // 000000007DD0: 0B737316
	v_mul_f32_e32 v186, v22, v186                              // 000000007DD4: 0B757516
	v_mul_f32_e32 v187, v22, v187                              // 000000007DD8: 0B777716
	v_mul_f32_dpp v184, v11, v184 row_newbcast:12 row_mask:0xf bank_mask:0xf// 000000007DDC: 0B7170FA FF015C0B
	v_mul_f32_dpp v185, v11, v185 row_newbcast:13 row_mask:0xf bank_mask:0xf// 000000007DE4: 0B7372FA FF015D0B
	v_mul_f32_dpp v186, v11, v186 row_newbcast:14 row_mask:0xf bank_mask:0xf// 000000007DEC: 0B7574FA FF015E0B
	v_mul_f32_dpp v187, v11, v187 row_newbcast:15 row_mask:0xf bank_mask:0xf// 000000007DF4: 0B7776FA FF015F0B
	v_mul_f32_e32 v184, v17, v184                              // 000000007DFC: 0B717111
	v_mul_f32_e32 v185, v17, v185                              // 000000007E00: 0B737311
	v_mul_f32_e32 v186, v17, v186                              // 000000007E04: 0B757511
	v_mul_f32_e32 v187, v17, v187                              // 000000007E08: 0B777711
	v_cvt_f32_i32_e32 v188, v188                               // 000000007E0C: 7F780BBC
	v_cvt_f32_i32_e32 v189, v189                               // 000000007E10: 7F7A0BBD
	v_cvt_f32_i32_e32 v190, v190                               // 000000007E14: 7F7C0BBE
	v_cvt_f32_i32_e32 v191, v191                               // 000000007E18: 7F7E0BBF
	v_mul_f32_e32 v188, v23, v188                              // 000000007E1C: 0B797917
	v_mul_f32_e32 v189, v23, v189                              // 000000007E20: 0B7B7B17
	v_mul_f32_e32 v190, v23, v190                              // 000000007E24: 0B7D7D17
	v_mul_f32_e32 v191, v23, v191                              // 000000007E28: 0B7F7F17
	v_mul_f32_dpp v188, v11, v188 row_newbcast:12 row_mask:0xf bank_mask:0xf// 000000007E2C: 0B7978FA FF015C0B
	v_mul_f32_dpp v189, v11, v189 row_newbcast:13 row_mask:0xf bank_mask:0xf// 000000007E34: 0B7B7AFA FF015D0B
	v_mul_f32_dpp v190, v11, v190 row_newbcast:14 row_mask:0xf bank_mask:0xf// 000000007E3C: 0B7D7CFA FF015E0B
	v_mul_f32_dpp v191, v11, v191 row_newbcast:15 row_mask:0xf bank_mask:0xf// 000000007E44: 0B7F7EFA FF015F0B
	v_mul_f32_e32 v188, v18, v188                              // 000000007E4C: 0B797912
	v_mul_f32_e32 v189, v18, v189                              // 000000007E50: 0B7B7B12
	v_mul_f32_e32 v190, v18, v190                              // 000000007E54: 0B7D7D12
	v_mul_f32_e32 v191, v18, v191                              // 000000007E58: 0B7F7F12
	v_cmp_u_f32_e64 s[48:49], v160, v160                       // 000000007E5C: D0480030 000341A0
	v_add3_u32 v40, v160, v43, 1                               // 000000007E64: D1FF0028 020657A0
	v_cndmask_b32_e64 v44, v40, v42, s[48:49]                  // 000000007E6C: D100002C 00C25528
	v_cmp_u_f32_e64 s[48:49], v161, v161                       // 000000007E74: D0480030 000343A1
	v_add3_u32 v40, v161, v43, 1                               // 000000007E7C: D1FF0028 020657A1
	v_cndmask_b32_e64 v45, v40, v42, s[48:49]                  // 000000007E84: D100002D 00C25528
	v_perm_b32 v160, v45, v44, s52                             // 000000007E8C: D1ED00A0 00D2592D
	v_cmp_u_f32_e64 s[48:49], v162, v162                       // 000000007E94: D0480030 000345A2
	v_add3_u32 v40, v162, v43, 1                               // 000000007E9C: D1FF0028 020657A2
	v_cndmask_b32_e64 v44, v40, v42, s[48:49]                  // 000000007EA4: D100002C 00C25528
	v_cmp_u_f32_e64 s[48:49], v163, v163                       // 000000007EAC: D0480030 000347A3
	v_add3_u32 v40, v163, v43, 1                               // 000000007EB4: D1FF0028 020657A3
	v_cndmask_b32_e64 v45, v40, v42, s[48:49]                  // 000000007EBC: D100002D 00C25528
	v_perm_b32 v161, v45, v44, s52                             // 000000007EC4: D1ED00A1 00D2592D
	v_cmp_u_f32_e64 s[48:49], v164, v164                       // 000000007ECC: D0480030 000349A4
	v_add3_u32 v40, v164, v43, 1                               // 000000007ED4: D1FF0028 020657A4
	v_cndmask_b32_e64 v44, v40, v42, s[48:49]                  // 000000007EDC: D100002C 00C25528
	v_cmp_u_f32_e64 s[48:49], v165, v165                       // 000000007EE4: D0480030 00034BA5
	v_add3_u32 v40, v165, v43, 1                               // 000000007EEC: D1FF0028 020657A5
	v_cndmask_b32_e64 v45, v40, v42, s[48:49]                  // 000000007EF4: D100002D 00C25528
	v_perm_b32 v162, v45, v44, s52                             // 000000007EFC: D1ED00A2 00D2592D
	v_cmp_u_f32_e64 s[48:49], v166, v166                       // 000000007F04: D0480030 00034DA6
	v_add3_u32 v40, v166, v43, 1                               // 000000007F0C: D1FF0028 020657A6
	v_cndmask_b32_e64 v44, v40, v42, s[48:49]                  // 000000007F14: D100002C 00C25528
	v_cmp_u_f32_e64 s[48:49], v167, v167                       // 000000007F1C: D0480030 00034FA7
	v_add3_u32 v40, v167, v43, 1                               // 000000007F24: D1FF0028 020657A7
	v_cndmask_b32_e64 v45, v40, v42, s[48:49]                  // 000000007F2C: D100002D 00C25528
	v_perm_b32 v163, v45, v44, s52                             // 000000007F34: D1ED00A3 00D2592D
	v_cmp_u_f32_e64 s[48:49], v168, v168                       // 000000007F3C: D0480030 000351A8
	v_add3_u32 v40, v168, v43, 1                               // 000000007F44: D1FF0028 020657A8
	v_cndmask_b32_e64 v44, v40, v42, s[48:49]                  // 000000007F4C: D100002C 00C25528
	v_cmp_u_f32_e64 s[48:49], v169, v169                       // 000000007F54: D0480030 000353A9
	v_add3_u32 v40, v169, v43, 1                               // 000000007F5C: D1FF0028 020657A9
	v_cndmask_b32_e64 v45, v40, v42, s[48:49]                  // 000000007F64: D100002D 00C25528
	v_perm_b32 v164, v45, v44, s52                             // 000000007F6C: D1ED00A4 00D2592D
	v_cmp_u_f32_e64 s[48:49], v170, v170                       // 000000007F74: D0480030 000355AA
	v_add3_u32 v40, v170, v43, 1                               // 000000007F7C: D1FF0028 020657AA
	v_cndmask_b32_e64 v44, v40, v42, s[48:49]                  // 000000007F84: D100002C 00C25528
	v_cmp_u_f32_e64 s[48:49], v171, v171                       // 000000007F8C: D0480030 000357AB
	v_add3_u32 v40, v171, v43, 1                               // 000000007F94: D1FF0028 020657AB
	v_cndmask_b32_e64 v45, v40, v42, s[48:49]                  // 000000007F9C: D100002D 00C25528
	v_perm_b32 v165, v45, v44, s52                             // 000000007FA4: D1ED00A5 00D2592D
	v_cmp_u_f32_e64 s[48:49], v172, v172                       // 000000007FAC: D0480030 000359AC
	v_add3_u32 v40, v172, v43, 1                               // 000000007FB4: D1FF0028 020657AC
	v_cndmask_b32_e64 v44, v40, v42, s[48:49]                  // 000000007FBC: D100002C 00C25528
	v_cmp_u_f32_e64 s[48:49], v173, v173                       // 000000007FC4: D0480030 00035BAD
	v_add3_u32 v40, v173, v43, 1                               // 000000007FCC: D1FF0028 020657AD
	v_cndmask_b32_e64 v45, v40, v42, s[48:49]                  // 000000007FD4: D100002D 00C25528
	v_perm_b32 v166, v45, v44, s52                             // 000000007FDC: D1ED00A6 00D2592D
	v_cmp_u_f32_e64 s[48:49], v174, v174                       // 000000007FE4: D0480030 00035DAE
	v_add3_u32 v40, v174, v43, 1                               // 000000007FEC: D1FF0028 020657AE
	v_cndmask_b32_e64 v44, v40, v42, s[48:49]                  // 000000007FF4: D100002C 00C25528
	v_cmp_u_f32_e64 s[48:49], v175, v175                       // 000000007FFC: D0480030 00035FAF
	v_add3_u32 v40, v175, v43, 1                               // 000000008004: D1FF0028 020657AF
	v_cndmask_b32_e64 v45, v40, v42, s[48:49]                  // 00000000800C: D100002D 00C25528
	v_perm_b32 v167, v45, v44, s52                             // 000000008014: D1ED00A7 00D2592D
	v_cmp_u_f32_e64 s[48:49], v176, v176                       // 00000000801C: D0480030 000361B0
	v_add3_u32 v40, v176, v43, 1                               // 000000008024: D1FF0028 020657B0
	v_cndmask_b32_e64 v44, v40, v42, s[48:49]                  // 00000000802C: D100002C 00C25528
	v_cmp_u_f32_e64 s[48:49], v177, v177                       // 000000008034: D0480030 000363B1
	v_add3_u32 v40, v177, v43, 1                               // 00000000803C: D1FF0028 020657B1
	v_cndmask_b32_e64 v45, v40, v42, s[48:49]                  // 000000008044: D100002D 00C25528
	v_perm_b32 v168, v45, v44, s52                             // 00000000804C: D1ED00A8 00D2592D
	v_cmp_u_f32_e64 s[48:49], v178, v178                       // 000000008054: D0480030 000365B2
	v_add3_u32 v40, v178, v43, 1                               // 00000000805C: D1FF0028 020657B2
	v_cndmask_b32_e64 v44, v40, v42, s[48:49]                  // 000000008064: D100002C 00C25528
	v_cmp_u_f32_e64 s[48:49], v179, v179                       // 00000000806C: D0480030 000367B3
	v_add3_u32 v40, v179, v43, 1                               // 000000008074: D1FF0028 020657B3
	v_cndmask_b32_e64 v45, v40, v42, s[48:49]                  // 00000000807C: D100002D 00C25528
	v_perm_b32 v169, v45, v44, s52                             // 000000008084: D1ED00A9 00D2592D
	v_cmp_u_f32_e64 s[48:49], v180, v180                       // 00000000808C: D0480030 000369B4
	v_add3_u32 v40, v180, v43, 1                               // 000000008094: D1FF0028 020657B4
	v_cndmask_b32_e64 v44, v40, v42, s[48:49]                  // 00000000809C: D100002C 00C25528
	v_cmp_u_f32_e64 s[48:49], v181, v181                       // 0000000080A4: D0480030 00036BB5
	v_add3_u32 v40, v181, v43, 1                               // 0000000080AC: D1FF0028 020657B5
	v_cndmask_b32_e64 v45, v40, v42, s[48:49]                  // 0000000080B4: D100002D 00C25528
	v_perm_b32 v170, v45, v44, s52                             // 0000000080BC: D1ED00AA 00D2592D
	v_cmp_u_f32_e64 s[48:49], v182, v182                       // 0000000080C4: D0480030 00036DB6
	v_add3_u32 v40, v182, v43, 1                               // 0000000080CC: D1FF0028 020657B6
	v_cndmask_b32_e64 v44, v40, v42, s[48:49]                  // 0000000080D4: D100002C 00C25528
	v_cmp_u_f32_e64 s[48:49], v183, v183                       // 0000000080DC: D0480030 00036FB7
	v_add3_u32 v40, v183, v43, 1                               // 0000000080E4: D1FF0028 020657B7
	v_cndmask_b32_e64 v45, v40, v42, s[48:49]                  // 0000000080EC: D100002D 00C25528
	v_perm_b32 v171, v45, v44, s52                             // 0000000080F4: D1ED00AB 00D2592D
	v_cmp_u_f32_e64 s[48:49], v184, v184                       // 0000000080FC: D0480030 000371B8
	v_add3_u32 v40, v184, v43, 1                               // 000000008104: D1FF0028 020657B8
	v_cndmask_b32_e64 v44, v40, v42, s[48:49]                  // 00000000810C: D100002C 00C25528
	v_cmp_u_f32_e64 s[48:49], v185, v185                       // 000000008114: D0480030 000373B9
	v_add3_u32 v40, v185, v43, 1                               // 00000000811C: D1FF0028 020657B9
	v_cndmask_b32_e64 v45, v40, v42, s[48:49]                  // 000000008124: D100002D 00C25528
	v_perm_b32 v172, v45, v44, s52                             // 00000000812C: D1ED00AC 00D2592D
	v_cmp_u_f32_e64 s[48:49], v186, v186                       // 000000008134: D0480030 000375BA
	v_add3_u32 v40, v186, v43, 1                               // 00000000813C: D1FF0028 020657BA
	v_cndmask_b32_e64 v44, v40, v42, s[48:49]                  // 000000008144: D100002C 00C25528
	v_cmp_u_f32_e64 s[48:49], v187, v187                       // 00000000814C: D0480030 000377BB
	v_add3_u32 v40, v187, v43, 1                               // 000000008154: D1FF0028 020657BB
	v_cndmask_b32_e64 v45, v40, v42, s[48:49]                  // 00000000815C: D100002D 00C25528
	v_perm_b32 v173, v45, v44, s52                             // 000000008164: D1ED00AD 00D2592D
	v_cmp_u_f32_e64 s[48:49], v188, v188                       // 00000000816C: D0480030 000379BC
	v_add3_u32 v40, v188, v43, 1                               // 000000008174: D1FF0028 020657BC
	v_cndmask_b32_e64 v44, v40, v42, s[48:49]                  // 00000000817C: D100002C 00C25528
	v_cmp_u_f32_e64 s[48:49], v189, v189                       // 000000008184: D0480030 00037BBD
	v_add3_u32 v40, v189, v43, 1                               // 00000000818C: D1FF0028 020657BD
	v_cndmask_b32_e64 v45, v40, v42, s[48:49]                  // 000000008194: D100002D 00C25528
	v_perm_b32 v174, v45, v44, s52                             // 00000000819C: D1ED00AE 00D2592D
	v_cmp_u_f32_e64 s[48:49], v190, v190                       // 0000000081A4: D0480030 00037DBE
	v_add3_u32 v40, v190, v43, 1                               // 0000000081AC: D1FF0028 020657BE
	v_cndmask_b32_e64 v44, v40, v42, s[48:49]                  // 0000000081B4: D100002C 00C25528
	v_cmp_u_f32_e64 s[48:49], v191, v191                       // 0000000081BC: D0480030 00037FBF
	v_add3_u32 v40, v191, v43, 1                               // 0000000081C4: D1FF0028 020657BF
	v_cndmask_b32_e64 v45, v40, v42, s[48:49]                  // 0000000081CC: D100002D 00C25528
	v_perm_b32 v175, v45, v44, s52                             // 0000000081D4: D1ED00AF 00D2592D
	ds_write_b64 v3, v[160:161] offset:26880                   // 0000000081DC: D89A6900 0000A003
	ds_write_b64 v3, v[162:163] offset:35584                   // 0000000081E4: D89A8B00 0000A203
	ds_write_b64 v3, v[164:165] offset:29056                   // 0000000081EC: D89A7180 0000A403
	ds_write_b64 v3, v[166:167] offset:37760                   // 0000000081F4: D89A9380 0000A603
	ds_write_b64 v3, v[168:169] offset:31232                   // 0000000081FC: D89A7A00 0000A803
	ds_write_b64 v3, v[170:171] offset:39936                   // 000000008204: D89A9C00 0000AA03
	ds_write_b64 v3, v[172:173] offset:33408                   // 00000000820C: D89A8280 0000AC03
	ds_write_b64 v3, v[174:175] offset:42112                   // 000000008214: D89AA480 0000AE03
	s_waitcnt lgkmcnt(0)                                       // 00000000821C: BF8CC07F
	s_barrier                                                  // 000000008220: BF8A0000
	ds_read_b32 v64, v4 offset:26880                           // 000000008224: D86C6900 40000004
	ds_read_b32 v65, v4 offset:31232                           // 00000000822C: D86C7A00 41000004
	ds_read_b32 v66, v4 offset:26912                           // 000000008234: D86C6920 42000004
	ds_read_b32 v67, v4 offset:31264                           // 00000000823C: D86C7A20 43000004
	ds_read_b32 v68, v4 offset:26944                           // 000000008244: D86C6940 44000004
	ds_read_b32 v69, v4 offset:31296                           // 00000000824C: D86C7A40 45000004
	ds_read_b32 v70, v4 offset:26976                           // 000000008254: D86C6960 46000004
	ds_read_b32 v71, v4 offset:31328                           // 00000000825C: D86C7A60 47000004
	ds_read_b32 v72, v4 offset:35584                           // 000000008264: D86C8B00 48000004
	ds_read_b32 v73, v4 offset:39936                           // 00000000826C: D86C9C00 49000004
	ds_read_b32 v74, v4 offset:35616                           // 000000008274: D86C8B20 4A000004
	ds_read_b32 v75, v4 offset:39968                           // 00000000827C: D86C9C20 4B000004
	ds_read_b32 v76, v4 offset:35648                           // 000000008284: D86C8B40 4C000004
	ds_read_b32 v77, v4 offset:40000                           // 00000000828C: D86C9C40 4D000004
	ds_read_b32 v78, v4 offset:35680                           // 000000008294: D86C8B60 4E000004
	ds_read_b32 v79, v4 offset:40032                           // 00000000829C: D86C9C60 4F000004
	s_waitcnt lgkmcnt(0)                                       // 0000000082A4: BF8CC07F
	s_mov_b64 exec, s[20:21]                                   // 0000000082A8: BEFE0114
	global_atomic_pk_add_bf16 v80, v64, s[8:9]                 // 0000000082AC: DD488000 00084050
	s_mov_b64 exec, s[36:37]                                   // 0000000082B4: BEFE0124
	s_mov_b64 exec, s[20:21]                                   // 0000000082B8: BEFE0114
	global_atomic_pk_add_bf16 v80, v65, s[8:9] offset:256      // 0000000082BC: DD488100 00084150
	s_mov_b64 exec, s[36:37]                                   // 0000000082C4: BEFE0124
	s_mov_b64 exec, s[22:23]                                   // 0000000082C8: BEFE0116
	global_atomic_pk_add_bf16 v82, v66, s[8:9]                 // 0000000082CC: DD488000 00084252
	s_mov_b64 exec, s[36:37]                                   // 0000000082D4: BEFE0124
	s_mov_b64 exec, s[22:23]                                   // 0000000082D8: BEFE0116
	global_atomic_pk_add_bf16 v82, v67, s[8:9] offset:256      // 0000000082DC: DD488100 00084352
	s_mov_b64 exec, s[36:37]                                   // 0000000082E4: BEFE0124
	s_mov_b64 exec, s[24:25]                                   // 0000000082E8: BEFE0118
	global_atomic_pk_add_bf16 v84, v68, s[8:9]                 // 0000000082EC: DD488000 00084454
	s_mov_b64 exec, s[36:37]                                   // 0000000082F4: BEFE0124
	s_mov_b64 exec, s[24:25]                                   // 0000000082F8: BEFE0118
	global_atomic_pk_add_bf16 v84, v69, s[8:9] offset:256      // 0000000082FC: DD488100 00084554
	s_mov_b64 exec, s[36:37]                                   // 000000008304: BEFE0124
	s_mov_b64 exec, s[26:27]                                   // 000000008308: BEFE011A
	global_atomic_pk_add_bf16 v86, v70, s[8:9]                 // 00000000830C: DD488000 00084656
	s_mov_b64 exec, s[36:37]                                   // 000000008314: BEFE0124
	s_mov_b64 exec, s[26:27]                                   // 000000008318: BEFE011A
	global_atomic_pk_add_bf16 v86, v71, s[8:9] offset:256      // 00000000831C: DD488100 00084756
	s_mov_b64 exec, s[36:37]                                   // 000000008324: BEFE0124
	s_mov_b64 exec, s[28:29]                                   // 000000008328: BEFE011C
	global_atomic_pk_add_bf16 v88, v72, s[8:9]                 // 00000000832C: DD488000 00084858
	s_mov_b64 exec, s[36:37]                                   // 000000008334: BEFE0124
	s_mov_b64 exec, s[28:29]                                   // 000000008338: BEFE011C
	global_atomic_pk_add_bf16 v88, v73, s[8:9] offset:256      // 00000000833C: DD488100 00084958
	s_mov_b64 exec, s[36:37]                                   // 000000008344: BEFE0124
	s_mov_b64 exec, s[30:31]                                   // 000000008348: BEFE011E
	global_atomic_pk_add_bf16 v90, v74, s[8:9]                 // 00000000834C: DD488000 00084A5A
	s_mov_b64 exec, s[36:37]                                   // 000000008354: BEFE0124
	s_mov_b64 exec, s[30:31]                                   // 000000008358: BEFE011E
	global_atomic_pk_add_bf16 v90, v75, s[8:9] offset:256      // 00000000835C: DD488100 00084B5A
	s_mov_b64 exec, s[36:37]                                   // 000000008364: BEFE0124
	s_mov_b64 exec, s[32:33]                                   // 000000008368: BEFE0120
	global_atomic_pk_add_bf16 v92, v76, s[8:9]                 // 00000000836C: DD488000 00084C5C
	s_mov_b64 exec, s[36:37]                                   // 000000008374: BEFE0124
	s_mov_b64 exec, s[32:33]                                   // 000000008378: BEFE0120
	global_atomic_pk_add_bf16 v92, v77, s[8:9] offset:256      // 00000000837C: DD488100 00084D5C
	s_mov_b64 exec, s[36:37]                                   // 000000008384: BEFE0124
	s_mov_b64 exec, s[34:35]                                   // 000000008388: BEFE0122
	global_atomic_pk_add_bf16 v94, v78, s[8:9]                 // 00000000838C: DD488000 00084E5E
	s_mov_b64 exec, s[36:37]                                   // 000000008394: BEFE0124
	s_mov_b64 exec, s[34:35]                                   // 000000008398: BEFE0122
	global_atomic_pk_add_bf16 v94, v79, s[8:9] offset:256      // 00000000839C: DD488100 00084F5E
	s_mov_b64 exec, s[36:37]                                   // 0000000083A4: BEFE0124
	s_add_u32 s8, s59, s8                                      // 0000000083A8: 8008083B
	s_addc_u32 s9, 0, s9                                       // 0000000083AC: 82090980
	s_addk_i32 s80, 0x100                                      // 0000000083B0: B7500100
	s_cmp_lt_i32 s80, s81                                      // 0000000083B4: BF045150
	s_cbranch_scc0 label_0D67                                  // 0000000083B8: BF84F7F8
	s_waitcnt vmcnt(29)                                        // 0000000083BC: BF8C4F7D
	s_barrier                                                  // 0000000083C0: BF8A0000
	v_mfma_i32_16x16x32_i8 v[192:195], a[64:65], v[128:129], 0 // 0000000083C4: D3D700C0 0A030140
	buffer_load_dwordx4 a[0:3], v36, s[12:15], 0 offen         // 0000000083CC: E05C1000 80830024
	v_mfma_i32_16x16x32_i8 v[192:195], a[66:67], v[130:131], v[192:195]// 0000000083D4: D3D700C0 0F030542
	v_mfma_i32_16x16x32_i8 v[196:199], a[64:65], v[144:145], 0 // 0000000083DC: D3D700C4 0A032140
	v_mfma_i32_16x16x32_i8 v[196:199], a[66:67], v[146:147], v[196:199]// 0000000083E4: D3D700C4 0F132542
	v_mfma_i32_16x16x32_i8 v[200:203], a[68:69], v[128:129], 0 // 0000000083EC: D3D700C8 0A030144
	buffer_load_dwordx4 a[4:7], v37, s[12:15], 0 offen         // 0000000083F4: E05C1000 80830425
	v_mfma_i32_16x16x32_i8 v[200:203], a[70:71], v[130:131], v[200:203]// 0000000083FC: D3D700C8 0F230546
	v_mfma_i32_16x16x32_i8 v[204:207], a[68:69], v[144:145], 0 // 000000008404: D3D700CC 0A032144
	v_mfma_i32_16x16x32_i8 v[204:207], a[70:71], v[146:147], v[204:207]// 00000000840C: D3D700CC 0F332546
	v_mfma_i32_16x16x32_i8 v[208:211], a[72:73], v[128:129], 0 // 000000008414: D3D700D0 0A030148
	buffer_load_dwordx4 a[8:11], v38, s[12:15], 0 offen        // 00000000841C: E05C1000 80830826
	v_mfma_i32_16x16x32_i8 v[208:211], a[74:75], v[130:131], v[208:211]// 000000008424: D3D700D0 0F43054A
	v_mfma_i32_16x16x32_i8 v[212:215], a[72:73], v[144:145], 0 // 00000000842C: D3D700D4 0A032148
	v_mfma_i32_16x16x32_i8 v[212:215], a[74:75], v[146:147], v[212:215]// 000000008434: D3D700D4 0F53254A
	v_mfma_i32_16x16x32_i8 v[216:219], a[76:77], v[128:129], 0 // 00000000843C: D3D700D8 0A03014C
	buffer_load_dwordx4 a[12:15], v39, s[12:15], 0 offen       // 000000008444: E05C1000 80830C27
	s_add_u32 s12, s78, s12                                    // 00000000844C: 800C0C4E
	s_addc_u32 s13, 0, s13                                     // 000000008450: 820D0D80
	v_mfma_i32_16x16x32_i8 v[216:219], a[78:79], v[130:131], v[216:219]// 000000008454: D3D700D8 0F63054E
	v_mfma_i32_16x16x32_i8 v[220:223], a[76:77], v[144:145], 0 // 00000000845C: D3D700DC 0A03214C
	v_mfma_i32_16x16x32_i8 v[220:223], a[78:79], v[146:147], v[220:223]// 000000008464: D3D700DC 0F73254E
	s_waitcnt vmcnt(29)                                        // 00000000846C: BF8C4F7D
	v_mfma_i32_16x16x32_i8 v[192:195], a[80:81], v[132:133], v[192:195]// 000000008470: D3D700C0 0F030950
	buffer_load_dwordx4 a[16:19], v36, s[12:15], 0 offen       // 000000008478: E05C1000 80831024
	v_mfma_i32_16x16x32_i8 v[192:195], a[82:83], v[134:135], v[192:195]// 000000008480: D3D700C0 0F030D52
	v_mfma_i32_16x16x32_i8 v[196:199], a[80:81], v[148:149], v[196:199]// 000000008488: D3D700C4 0F132950
	v_mfma_i32_16x16x32_i8 v[196:199], a[82:83], v[150:151], v[196:199]// 000000008490: D3D700C4 0F132D52
	v_mfma_i32_16x16x32_i8 v[200:203], a[84:85], v[132:133], v[200:203]// 000000008498: D3D700C8 0F230954
	buffer_load_dwordx4 a[20:23], v37, s[12:15], 0 offen       // 0000000084A0: E05C1000 80831425
	v_mfma_i32_16x16x32_i8 v[200:203], a[86:87], v[134:135], v[200:203]// 0000000084A8: D3D700C8 0F230D56
	v_mfma_i32_16x16x32_i8 v[204:207], a[84:85], v[148:149], v[204:207]// 0000000084B0: D3D700CC 0F332954
	v_mfma_i32_16x16x32_i8 v[204:207], a[86:87], v[150:151], v[204:207]// 0000000084B8: D3D700CC 0F332D56
	v_mfma_i32_16x16x32_i8 v[208:211], a[88:89], v[132:133], v[208:211]// 0000000084C0: D3D700D0 0F430958
	buffer_load_dwordx4 a[24:27], v38, s[12:15], 0 offen       // 0000000084C8: E05C1000 80831826
	v_mfma_i32_16x16x32_i8 v[208:211], a[90:91], v[134:135], v[208:211]// 0000000084D0: D3D700D0 0F430D5A
	v_mfma_i32_16x16x32_i8 v[212:215], a[88:89], v[148:149], v[212:215]// 0000000084D8: D3D700D4 0F532958
	v_mfma_i32_16x16x32_i8 v[212:215], a[90:91], v[150:151], v[212:215]// 0000000084E0: D3D700D4 0F532D5A
	v_mfma_i32_16x16x32_i8 v[216:219], a[92:93], v[132:133], v[216:219]// 0000000084E8: D3D700D8 0F63095C
	buffer_load_dwordx4 a[28:31], v39, s[12:15], 0 offen       // 0000000084F0: E05C1000 80831C27
	s_add_u32 s12, s78, s12                                    // 0000000084F8: 800C0C4E
	s_addc_u32 s13, 0, s13                                     // 0000000084FC: 820D0D80
	v_mfma_i32_16x16x32_i8 v[216:219], a[94:95], v[134:135], v[216:219]// 000000008500: D3D700D8 0F630D5E
	v_mfma_i32_16x16x32_i8 v[220:223], a[92:93], v[148:149], v[220:223]// 000000008508: D3D700DC 0F73295C
	v_mfma_i32_16x16x32_i8 v[220:223], a[94:95], v[150:151], v[220:223]// 000000008510: D3D700DC 0F732D5E
	s_waitcnt vmcnt(29)                                        // 000000008518: BF8C4F7D
	v_mfma_i32_16x16x32_i8 v[192:195], a[96:97], v[136:137], v[192:195]// 00000000851C: D3D700C0 0F031160
	buffer_load_dwordx4 a[32:35], v36, s[12:15], 0 offen       // 000000008524: E05C1000 80832024
	v_mfma_i32_16x16x32_i8 v[192:195], a[98:99], v[138:139], v[192:195]// 00000000852C: D3D700C0 0F031562
	v_mfma_i32_16x16x32_i8 v[196:199], a[96:97], v[152:153], v[196:199]// 000000008534: D3D700C4 0F133160
	v_mfma_i32_16x16x32_i8 v[196:199], a[98:99], v[154:155], v[196:199]// 00000000853C: D3D700C4 0F133562
	v_mfma_i32_16x16x32_i8 v[200:203], a[100:101], v[136:137], v[200:203]// 000000008544: D3D700C8 0F231164
	buffer_load_dwordx4 a[36:39], v37, s[12:15], 0 offen       // 00000000854C: E05C1000 80832425
	v_mfma_i32_16x16x32_i8 v[200:203], a[102:103], v[138:139], v[200:203]// 000000008554: D3D700C8 0F231566
	v_mfma_i32_16x16x32_i8 v[204:207], a[100:101], v[152:153], v[204:207]// 00000000855C: D3D700CC 0F333164
	v_mfma_i32_16x16x32_i8 v[204:207], a[102:103], v[154:155], v[204:207]// 000000008564: D3D700CC 0F333566
	v_mfma_i32_16x16x32_i8 v[208:211], a[104:105], v[136:137], v[208:211]// 00000000856C: D3D700D0 0F431168
	buffer_load_dwordx4 a[40:43], v38, s[12:15], 0 offen       // 000000008574: E05C1000 80832826
	v_mfma_i32_16x16x32_i8 v[208:211], a[106:107], v[138:139], v[208:211]// 00000000857C: D3D700D0 0F43156A
	v_mfma_i32_16x16x32_i8 v[212:215], a[104:105], v[152:153], v[212:215]// 000000008584: D3D700D4 0F533168
	v_mfma_i32_16x16x32_i8 v[212:215], a[106:107], v[154:155], v[212:215]// 00000000858C: D3D700D4 0F53356A
	v_mfma_i32_16x16x32_i8 v[216:219], a[108:109], v[136:137], v[216:219]// 000000008594: D3D700D8 0F63116C
	buffer_load_dwordx4 a[44:47], v39, s[12:15], 0 offen       // 00000000859C: E05C1000 80832C27
	s_add_u32 s12, s78, s12                                    // 0000000085A4: 800C0C4E
	s_addc_u32 s13, 0, s13                                     // 0000000085A8: 820D0D80
	v_mfma_i32_16x16x32_i8 v[216:219], a[110:111], v[138:139], v[216:219]// 0000000085AC: D3D700D8 0F63156E
	v_mfma_i32_16x16x32_i8 v[220:223], a[108:109], v[152:153], v[220:223]// 0000000085B4: D3D700DC 0F73316C
	v_mfma_i32_16x16x32_i8 v[220:223], a[110:111], v[154:155], v[220:223]// 0000000085BC: D3D700DC 0F73356E
	s_waitcnt vmcnt(28)                                        // 0000000085C4: BF8C4F7C
	v_mfma_i32_16x16x32_i8 v[192:195], a[112:113], v[140:141], v[192:195]// 0000000085C8: D3D700C0 0F031970
	buffer_load_dwordx4 a[48:51], v36, s[12:15], 0 offen       // 0000000085D0: E05C1000 80833024
	v_mfma_i32_16x16x32_i8 v[192:195], a[114:115], v[142:143], v[192:195]// 0000000085D8: D3D700C0 0F031D72
	v_mfma_i32_16x16x32_i8 v[196:199], a[112:113], v[156:157], v[196:199]// 0000000085E0: D3D700C4 0F133970
	buffer_load_dword v11, v5, s[16:19], 0 offen               // 0000000085E8: E0501000 80040B05
	v_mfma_i32_16x16x32_i8 v[196:199], a[114:115], v[158:159], v[196:199]// 0000000085F0: D3D700C4 0F133D72
	v_mfma_i32_16x16x32_i8 v[200:203], a[116:117], v[140:141], v[200:203]// 0000000085F8: D3D700C8 0F231974
	buffer_load_dwordx4 a[52:55], v37, s[12:15], 0 offen       // 000000008600: E05C1000 80833425
	v_mfma_i32_16x16x32_i8 v[200:203], a[118:119], v[142:143], v[200:203]// 000000008608: D3D700C8 0F231D76
	v_mfma_i32_16x16x32_i8 v[204:207], a[116:117], v[156:157], v[204:207]// 000000008610: D3D700CC 0F333974
	v_mfma_i32_16x16x32_i8 v[204:207], a[118:119], v[158:159], v[204:207]// 000000008618: D3D700CC 0F333D76
	v_mfma_i32_16x16x32_i8 v[208:211], a[120:121], v[140:141], v[208:211]// 000000008620: D3D700D0 0F431978
	buffer_load_dwordx4 a[56:59], v38, s[12:15], 0 offen       // 000000008628: E05C1000 80833826
	v_mfma_i32_16x16x32_i8 v[208:211], a[122:123], v[142:143], v[208:211]// 000000008630: D3D700D0 0F431D7A
	v_mfma_i32_16x16x32_i8 v[212:215], a[120:121], v[156:157], v[212:215]// 000000008638: D3D700D4 0F533978
	v_mfma_i32_16x16x32_i8 v[212:215], a[122:123], v[158:159], v[212:215]// 000000008640: D3D700D4 0F533D7A
	v_mfma_i32_16x16x32_i8 v[216:219], a[124:125], v[140:141], v[216:219]// 000000008648: D3D700D8 0F63197C
	buffer_load_dwordx4 a[60:63], v39, s[12:15], 0 offen       // 000000008650: E05C1000 80833C27
	v_mfma_i32_16x16x32_i8 v[216:219], a[126:127], v[142:143], v[216:219]// 000000008658: D3D700D8 0F631D7E
	v_mfma_i32_16x16x32_i8 v[220:223], a[124:125], v[156:157], v[220:223]// 000000008660: D3D700DC 0F73397C
	v_mfma_i32_16x16x32_i8 v[220:223], a[126:127], v[158:159], v[220:223]// 000000008668: D3D700DC 0F733D7E
	s_add_u32 s60, 0x200, s80                                  // 000000008670: 803C50FF 00000200
	s_cmp_lt_u32 s60, s81                                      // 000000008678: BF0A513C
	s_cselect_b32 s56, s56, 0                                  // 00000000867C: 85388038
	s_cselect_b32 s78, s78, 0                                  // 000000008680: 854E804E
	s_cselect_b32 s79, s79, 0                                  // 000000008684: 854F804F
	s_add_u32 s12, s56, s12                                    // 000000008688: 800C0C38
	s_addc_u32 s13, 0, s13                                     // 00000000868C: 820D0D80
	s_add_u32 s16, s79, s16                                    // 000000008690: 8010104F
	s_addc_u32 s17, 0, s17                                     // 000000008694: 82111180
	v_cvt_f32_i32_e32 v192, v192                               // 000000008698: 7F800BC0
	v_cvt_f32_i32_e32 v193, v193                               // 00000000869C: 7F820BC1
	v_cvt_f32_i32_e32 v194, v194                               // 0000000086A0: 7F840BC2
	v_cvt_f32_i32_e32 v195, v195                               // 0000000086A4: 7F860BC3
	v_mul_f32_e32 v192, v22, v192                              // 0000000086A8: 0B818116
	v_mul_f32_e32 v193, v22, v193                              // 0000000086AC: 0B838316
	v_mul_f32_e32 v194, v22, v194                              // 0000000086B0: 0B858516
	v_mul_f32_e32 v195, v22, v195                              // 0000000086B4: 0B878716
	v_mul_f32_dpp v192, v12, v192 row_newbcast:0 row_mask:0xf bank_mask:0xf// 0000000086B8: 0B8180FA FF01500C
	v_mul_f32_dpp v193, v12, v193 row_newbcast:1 row_mask:0xf bank_mask:0xf// 0000000086C0: 0B8382FA FF01510C
	v_mul_f32_dpp v194, v12, v194 row_newbcast:2 row_mask:0xf bank_mask:0xf// 0000000086C8: 0B8584FA FF01520C
	v_mul_f32_dpp v195, v12, v195 row_newbcast:3 row_mask:0xf bank_mask:0xf// 0000000086D0: 0B8786FA FF01530C
	v_mul_f32_e32 v192, v17, v192                              // 0000000086D8: 0B818111
	v_mul_f32_e32 v193, v17, v193                              // 0000000086DC: 0B838311
	v_mul_f32_e32 v194, v17, v194                              // 0000000086E0: 0B858511
	v_mul_f32_e32 v195, v17, v195                              // 0000000086E4: 0B878711
	v_cvt_f32_i32_e32 v196, v196                               // 0000000086E8: 7F880BC4
	v_cvt_f32_i32_e32 v197, v197                               // 0000000086EC: 7F8A0BC5
	v_cvt_f32_i32_e32 v198, v198                               // 0000000086F0: 7F8C0BC6
	v_cvt_f32_i32_e32 v199, v199                               // 0000000086F4: 7F8E0BC7
	v_mul_f32_e32 v196, v23, v196                              // 0000000086F8: 0B898917
	v_mul_f32_e32 v197, v23, v197                              // 0000000086FC: 0B8B8B17
	v_mul_f32_e32 v198, v23, v198                              // 000000008700: 0B8D8D17
	v_mul_f32_e32 v199, v23, v199                              // 000000008704: 0B8F8F17
	v_mul_f32_dpp v196, v12, v196 row_newbcast:0 row_mask:0xf bank_mask:0xf// 000000008708: 0B8988FA FF01500C
	v_mul_f32_dpp v197, v12, v197 row_newbcast:1 row_mask:0xf bank_mask:0xf// 000000008710: 0B8B8AFA FF01510C
	v_mul_f32_dpp v198, v12, v198 row_newbcast:2 row_mask:0xf bank_mask:0xf// 000000008718: 0B8D8CFA FF01520C
	v_mul_f32_dpp v199, v12, v199 row_newbcast:3 row_mask:0xf bank_mask:0xf// 000000008720: 0B8F8EFA FF01530C
	v_mul_f32_e32 v196, v18, v196                              // 000000008728: 0B898912
	v_mul_f32_e32 v197, v18, v197                              // 00000000872C: 0B8B8B12
	v_mul_f32_e32 v198, v18, v198                              // 000000008730: 0B8D8D12
	v_mul_f32_e32 v199, v18, v199                              // 000000008734: 0B8F8F12
	v_cvt_f32_i32_e32 v200, v200                               // 000000008738: 7F900BC8
	v_cvt_f32_i32_e32 v201, v201                               // 00000000873C: 7F920BC9
	v_cvt_f32_i32_e32 v202, v202                               // 000000008740: 7F940BCA
	v_cvt_f32_i32_e32 v203, v203                               // 000000008744: 7F960BCB
	v_mul_f32_e32 v200, v22, v200                              // 000000008748: 0B919116
	v_mul_f32_e32 v201, v22, v201                              // 00000000874C: 0B939316
	v_mul_f32_e32 v202, v22, v202                              // 000000008750: 0B959516
	v_mul_f32_e32 v203, v22, v203                              // 000000008754: 0B979716
	v_mul_f32_dpp v200, v12, v200 row_newbcast:4 row_mask:0xf bank_mask:0xf// 000000008758: 0B9190FA FF01540C
	v_mul_f32_dpp v201, v12, v201 row_newbcast:5 row_mask:0xf bank_mask:0xf// 000000008760: 0B9392FA FF01550C
	v_mul_f32_dpp v202, v12, v202 row_newbcast:6 row_mask:0xf bank_mask:0xf// 000000008768: 0B9594FA FF01560C
	v_mul_f32_dpp v203, v12, v203 row_newbcast:7 row_mask:0xf bank_mask:0xf// 000000008770: 0B9796FA FF01570C
	v_mul_f32_e32 v200, v17, v200                              // 000000008778: 0B919111
	v_mul_f32_e32 v201, v17, v201                              // 00000000877C: 0B939311
	v_mul_f32_e32 v202, v17, v202                              // 000000008780: 0B959511
	v_mul_f32_e32 v203, v17, v203                              // 000000008784: 0B979711
	v_cvt_f32_i32_e32 v204, v204                               // 000000008788: 7F980BCC
	v_cvt_f32_i32_e32 v205, v205                               // 00000000878C: 7F9A0BCD
	v_cvt_f32_i32_e32 v206, v206                               // 000000008790: 7F9C0BCE
	v_cvt_f32_i32_e32 v207, v207                               // 000000008794: 7F9E0BCF
	v_mul_f32_e32 v204, v23, v204                              // 000000008798: 0B999917
	v_mul_f32_e32 v205, v23, v205                              // 00000000879C: 0B9B9B17
	v_mul_f32_e32 v206, v23, v206                              // 0000000087A0: 0B9D9D17
	v_mul_f32_e32 v207, v23, v207                              // 0000000087A4: 0B9F9F17
	v_mul_f32_dpp v204, v12, v204 row_newbcast:4 row_mask:0xf bank_mask:0xf// 0000000087A8: 0B9998FA FF01540C
	v_mul_f32_dpp v205, v12, v205 row_newbcast:5 row_mask:0xf bank_mask:0xf// 0000000087B0: 0B9B9AFA FF01550C
	v_mul_f32_dpp v206, v12, v206 row_newbcast:6 row_mask:0xf bank_mask:0xf// 0000000087B8: 0B9D9CFA FF01560C
	v_mul_f32_dpp v207, v12, v207 row_newbcast:7 row_mask:0xf bank_mask:0xf// 0000000087C0: 0B9F9EFA FF01570C
	v_mul_f32_e32 v204, v18, v204                              // 0000000087C8: 0B999912
	v_mul_f32_e32 v205, v18, v205                              // 0000000087CC: 0B9B9B12
	v_mul_f32_e32 v206, v18, v206                              // 0000000087D0: 0B9D9D12
	v_mul_f32_e32 v207, v18, v207                              // 0000000087D4: 0B9F9F12
	v_cvt_f32_i32_e32 v208, v208                               // 0000000087D8: 7FA00BD0
	v_cvt_f32_i32_e32 v209, v209                               // 0000000087DC: 7FA20BD1
	v_cvt_f32_i32_e32 v210, v210                               // 0000000087E0: 7FA40BD2
	v_cvt_f32_i32_e32 v211, v211                               // 0000000087E4: 7FA60BD3
	v_mul_f32_e32 v208, v22, v208                              // 0000000087E8: 0BA1A116
	v_mul_f32_e32 v209, v22, v209                              // 0000000087EC: 0BA3A316
	v_mul_f32_e32 v210, v22, v210                              // 0000000087F0: 0BA5A516
	v_mul_f32_e32 v211, v22, v211                              // 0000000087F4: 0BA7A716
	v_mul_f32_dpp v208, v12, v208 row_newbcast:8 row_mask:0xf bank_mask:0xf// 0000000087F8: 0BA1A0FA FF01580C
	v_mul_f32_dpp v209, v12, v209 row_newbcast:9 row_mask:0xf bank_mask:0xf// 000000008800: 0BA3A2FA FF01590C
	v_mul_f32_dpp v210, v12, v210 row_newbcast:10 row_mask:0xf bank_mask:0xf// 000000008808: 0BA5A4FA FF015A0C
	v_mul_f32_dpp v211, v12, v211 row_newbcast:11 row_mask:0xf bank_mask:0xf// 000000008810: 0BA7A6FA FF015B0C
	v_mul_f32_e32 v208, v17, v208                              // 000000008818: 0BA1A111
	v_mul_f32_e32 v209, v17, v209                              // 00000000881C: 0BA3A311
	v_mul_f32_e32 v210, v17, v210                              // 000000008820: 0BA5A511
	v_mul_f32_e32 v211, v17, v211                              // 000000008824: 0BA7A711
	v_cvt_f32_i32_e32 v212, v212                               // 000000008828: 7FA80BD4
	v_cvt_f32_i32_e32 v213, v213                               // 00000000882C: 7FAA0BD5
	v_cvt_f32_i32_e32 v214, v214                               // 000000008830: 7FAC0BD6
	v_cvt_f32_i32_e32 v215, v215                               // 000000008834: 7FAE0BD7
	v_mul_f32_e32 v212, v23, v212                              // 000000008838: 0BA9A917
	v_mul_f32_e32 v213, v23, v213                              // 00000000883C: 0BABAB17
	v_mul_f32_e32 v214, v23, v214                              // 000000008840: 0BADAD17
	v_mul_f32_e32 v215, v23, v215                              // 000000008844: 0BAFAF17
	v_mul_f32_dpp v212, v12, v212 row_newbcast:8 row_mask:0xf bank_mask:0xf// 000000008848: 0BA9A8FA FF01580C
	v_mul_f32_dpp v213, v12, v213 row_newbcast:9 row_mask:0xf bank_mask:0xf// 000000008850: 0BABAAFA FF01590C
	v_mul_f32_dpp v214, v12, v214 row_newbcast:10 row_mask:0xf bank_mask:0xf// 000000008858: 0BADACFA FF015A0C
	v_mul_f32_dpp v215, v12, v215 row_newbcast:11 row_mask:0xf bank_mask:0xf// 000000008860: 0BAFAEFA FF015B0C
	v_mul_f32_e32 v212, v18, v212                              // 000000008868: 0BA9A912
	v_mul_f32_e32 v213, v18, v213                              // 00000000886C: 0BABAB12
	v_mul_f32_e32 v214, v18, v214                              // 000000008870: 0BADAD12
	v_mul_f32_e32 v215, v18, v215                              // 000000008874: 0BAFAF12
	v_cvt_f32_i32_e32 v216, v216                               // 000000008878: 7FB00BD8
	v_cvt_f32_i32_e32 v217, v217                               // 00000000887C: 7FB20BD9
	v_cvt_f32_i32_e32 v218, v218                               // 000000008880: 7FB40BDA
	v_cvt_f32_i32_e32 v219, v219                               // 000000008884: 7FB60BDB
	v_mul_f32_e32 v216, v22, v216                              // 000000008888: 0BB1B116
	v_mul_f32_e32 v217, v22, v217                              // 00000000888C: 0BB3B316
	v_mul_f32_e32 v218, v22, v218                              // 000000008890: 0BB5B516
	v_mul_f32_e32 v219, v22, v219                              // 000000008894: 0BB7B716
	v_mul_f32_dpp v216, v12, v216 row_newbcast:12 row_mask:0xf bank_mask:0xf// 000000008898: 0BB1B0FA FF015C0C
	v_mul_f32_dpp v217, v12, v217 row_newbcast:13 row_mask:0xf bank_mask:0xf// 0000000088A0: 0BB3B2FA FF015D0C
	v_mul_f32_dpp v218, v12, v218 row_newbcast:14 row_mask:0xf bank_mask:0xf// 0000000088A8: 0BB5B4FA FF015E0C
	v_mul_f32_dpp v219, v12, v219 row_newbcast:15 row_mask:0xf bank_mask:0xf// 0000000088B0: 0BB7B6FA FF015F0C
	v_mul_f32_e32 v216, v17, v216                              // 0000000088B8: 0BB1B111
	v_mul_f32_e32 v217, v17, v217                              // 0000000088BC: 0BB3B311
	v_mul_f32_e32 v218, v17, v218                              // 0000000088C0: 0BB5B511
	v_mul_f32_e32 v219, v17, v219                              // 0000000088C4: 0BB7B711
	v_cvt_f32_i32_e32 v220, v220                               // 0000000088C8: 7FB80BDC
	v_cvt_f32_i32_e32 v221, v221                               // 0000000088CC: 7FBA0BDD
	v_cvt_f32_i32_e32 v222, v222                               // 0000000088D0: 7FBC0BDE
	v_cvt_f32_i32_e32 v223, v223                               // 0000000088D4: 7FBE0BDF
	v_mul_f32_e32 v220, v23, v220                              // 0000000088D8: 0BB9B917
	v_mul_f32_e32 v221, v23, v221                              // 0000000088DC: 0BBBBB17
	v_mul_f32_e32 v222, v23, v222                              // 0000000088E0: 0BBDBD17
	v_mul_f32_e32 v223, v23, v223                              // 0000000088E4: 0BBFBF17
	v_mul_f32_dpp v220, v12, v220 row_newbcast:12 row_mask:0xf bank_mask:0xf// 0000000088E8: 0BB9B8FA FF015C0C
	v_mul_f32_dpp v221, v12, v221 row_newbcast:13 row_mask:0xf bank_mask:0xf// 0000000088F0: 0BBBBAFA FF015D0C
	v_mul_f32_dpp v222, v12, v222 row_newbcast:14 row_mask:0xf bank_mask:0xf// 0000000088F8: 0BBDBCFA FF015E0C
	v_mul_f32_dpp v223, v12, v223 row_newbcast:15 row_mask:0xf bank_mask:0xf// 000000008900: 0BBFBEFA FF015F0C
	v_mul_f32_e32 v220, v18, v220                              // 000000008908: 0BB9B912
	v_mul_f32_e32 v221, v18, v221                              // 00000000890C: 0BBBBB12
	v_mul_f32_e32 v222, v18, v222                              // 000000008910: 0BBDBD12
	v_mul_f32_e32 v223, v18, v223                              // 000000008914: 0BBFBF12
	v_cmp_u_f32_e64 s[48:49], v192, v192                       // 000000008918: D0480030 000381C0
	v_add3_u32 v40, v192, v43, 1                               // 000000008920: D1FF0028 020657C0
	v_cndmask_b32_e64 v44, v40, v42, s[48:49]                  // 000000008928: D100002C 00C25528
	v_cmp_u_f32_e64 s[48:49], v193, v193                       // 000000008930: D0480030 000383C1
	v_add3_u32 v40, v193, v43, 1                               // 000000008938: D1FF0028 020657C1
	v_cndmask_b32_e64 v45, v40, v42, s[48:49]                  // 000000008940: D100002D 00C25528
	v_perm_b32 v192, v45, v44, s52                             // 000000008948: D1ED00C0 00D2592D
	v_cmp_u_f32_e64 s[48:49], v194, v194                       // 000000008950: D0480030 000385C2
	v_add3_u32 v40, v194, v43, 1                               // 000000008958: D1FF0028 020657C2
	v_cndmask_b32_e64 v44, v40, v42, s[48:49]                  // 000000008960: D100002C 00C25528
	v_cmp_u_f32_e64 s[48:49], v195, v195                       // 000000008968: D0480030 000387C3
	v_add3_u32 v40, v195, v43, 1                               // 000000008970: D1FF0028 020657C3
	v_cndmask_b32_e64 v45, v40, v42, s[48:49]                  // 000000008978: D100002D 00C25528
	v_perm_b32 v193, v45, v44, s52                             // 000000008980: D1ED00C1 00D2592D
	v_cmp_u_f32_e64 s[48:49], v196, v196                       // 000000008988: D0480030 000389C4
	v_add3_u32 v40, v196, v43, 1                               // 000000008990: D1FF0028 020657C4
	v_cndmask_b32_e64 v44, v40, v42, s[48:49]                  // 000000008998: D100002C 00C25528
	v_cmp_u_f32_e64 s[48:49], v197, v197                       // 0000000089A0: D0480030 00038BC5
	v_add3_u32 v40, v197, v43, 1                               // 0000000089A8: D1FF0028 020657C5
	v_cndmask_b32_e64 v45, v40, v42, s[48:49]                  // 0000000089B0: D100002D 00C25528
	v_perm_b32 v194, v45, v44, s52                             // 0000000089B8: D1ED00C2 00D2592D
	v_cmp_u_f32_e64 s[48:49], v198, v198                       // 0000000089C0: D0480030 00038DC6
	v_add3_u32 v40, v198, v43, 1                               // 0000000089C8: D1FF0028 020657C6
	v_cndmask_b32_e64 v44, v40, v42, s[48:49]                  // 0000000089D0: D100002C 00C25528
	v_cmp_u_f32_e64 s[48:49], v199, v199                       // 0000000089D8: D0480030 00038FC7
	v_add3_u32 v40, v199, v43, 1                               // 0000000089E0: D1FF0028 020657C7
	v_cndmask_b32_e64 v45, v40, v42, s[48:49]                  // 0000000089E8: D100002D 00C25528
	v_perm_b32 v195, v45, v44, s52                             // 0000000089F0: D1ED00C3 00D2592D
	v_cmp_u_f32_e64 s[48:49], v200, v200                       // 0000000089F8: D0480030 000391C8
	v_add3_u32 v40, v200, v43, 1                               // 000000008A00: D1FF0028 020657C8
	v_cndmask_b32_e64 v44, v40, v42, s[48:49]                  // 000000008A08: D100002C 00C25528
	v_cmp_u_f32_e64 s[48:49], v201, v201                       // 000000008A10: D0480030 000393C9
	v_add3_u32 v40, v201, v43, 1                               // 000000008A18: D1FF0028 020657C9
	v_cndmask_b32_e64 v45, v40, v42, s[48:49]                  // 000000008A20: D100002D 00C25528
	v_perm_b32 v196, v45, v44, s52                             // 000000008A28: D1ED00C4 00D2592D
	v_cmp_u_f32_e64 s[48:49], v202, v202                       // 000000008A30: D0480030 000395CA
	v_add3_u32 v40, v202, v43, 1                               // 000000008A38: D1FF0028 020657CA
	v_cndmask_b32_e64 v44, v40, v42, s[48:49]                  // 000000008A40: D100002C 00C25528
	v_cmp_u_f32_e64 s[48:49], v203, v203                       // 000000008A48: D0480030 000397CB
	v_add3_u32 v40, v203, v43, 1                               // 000000008A50: D1FF0028 020657CB
	v_cndmask_b32_e64 v45, v40, v42, s[48:49]                  // 000000008A58: D100002D 00C25528
	v_perm_b32 v197, v45, v44, s52                             // 000000008A60: D1ED00C5 00D2592D
	v_cmp_u_f32_e64 s[48:49], v204, v204                       // 000000008A68: D0480030 000399CC
	v_add3_u32 v40, v204, v43, 1                               // 000000008A70: D1FF0028 020657CC
	v_cndmask_b32_e64 v44, v40, v42, s[48:49]                  // 000000008A78: D100002C 00C25528
	v_cmp_u_f32_e64 s[48:49], v205, v205                       // 000000008A80: D0480030 00039BCD
	v_add3_u32 v40, v205, v43, 1                               // 000000008A88: D1FF0028 020657CD
	v_cndmask_b32_e64 v45, v40, v42, s[48:49]                  // 000000008A90: D100002D 00C25528
	v_perm_b32 v198, v45, v44, s52                             // 000000008A98: D1ED00C6 00D2592D
	v_cmp_u_f32_e64 s[48:49], v206, v206                       // 000000008AA0: D0480030 00039DCE
	v_add3_u32 v40, v206, v43, 1                               // 000000008AA8: D1FF0028 020657CE
	v_cndmask_b32_e64 v44, v40, v42, s[48:49]                  // 000000008AB0: D100002C 00C25528
	v_cmp_u_f32_e64 s[48:49], v207, v207                       // 000000008AB8: D0480030 00039FCF
	v_add3_u32 v40, v207, v43, 1                               // 000000008AC0: D1FF0028 020657CF
	v_cndmask_b32_e64 v45, v40, v42, s[48:49]                  // 000000008AC8: D100002D 00C25528
	v_perm_b32 v199, v45, v44, s52                             // 000000008AD0: D1ED00C7 00D2592D
	v_cmp_u_f32_e64 s[48:49], v208, v208                       // 000000008AD8: D0480030 0003A1D0
	v_add3_u32 v40, v208, v43, 1                               // 000000008AE0: D1FF0028 020657D0
	v_cndmask_b32_e64 v44, v40, v42, s[48:49]                  // 000000008AE8: D100002C 00C25528
	v_cmp_u_f32_e64 s[48:49], v209, v209                       // 000000008AF0: D0480030 0003A3D1
	v_add3_u32 v40, v209, v43, 1                               // 000000008AF8: D1FF0028 020657D1
	v_cndmask_b32_e64 v45, v40, v42, s[48:49]                  // 000000008B00: D100002D 00C25528
	v_perm_b32 v200, v45, v44, s52                             // 000000008B08: D1ED00C8 00D2592D
	v_cmp_u_f32_e64 s[48:49], v210, v210                       // 000000008B10: D0480030 0003A5D2
	v_add3_u32 v40, v210, v43, 1                               // 000000008B18: D1FF0028 020657D2
	v_cndmask_b32_e64 v44, v40, v42, s[48:49]                  // 000000008B20: D100002C 00C25528
	v_cmp_u_f32_e64 s[48:49], v211, v211                       // 000000008B28: D0480030 0003A7D3
	v_add3_u32 v40, v211, v43, 1                               // 000000008B30: D1FF0028 020657D3
	v_cndmask_b32_e64 v45, v40, v42, s[48:49]                  // 000000008B38: D100002D 00C25528
	v_perm_b32 v201, v45, v44, s52                             // 000000008B40: D1ED00C9 00D2592D
	v_cmp_u_f32_e64 s[48:49], v212, v212                       // 000000008B48: D0480030 0003A9D4
	v_add3_u32 v40, v212, v43, 1                               // 000000008B50: D1FF0028 020657D4
	v_cndmask_b32_e64 v44, v40, v42, s[48:49]                  // 000000008B58: D100002C 00C25528
	v_cmp_u_f32_e64 s[48:49], v213, v213                       // 000000008B60: D0480030 0003ABD5
	v_add3_u32 v40, v213, v43, 1                               // 000000008B68: D1FF0028 020657D5
	v_cndmask_b32_e64 v45, v40, v42, s[48:49]                  // 000000008B70: D100002D 00C25528
	v_perm_b32 v202, v45, v44, s52                             // 000000008B78: D1ED00CA 00D2592D
	v_cmp_u_f32_e64 s[48:49], v214, v214                       // 000000008B80: D0480030 0003ADD6
	v_add3_u32 v40, v214, v43, 1                               // 000000008B88: D1FF0028 020657D6
	v_cndmask_b32_e64 v44, v40, v42, s[48:49]                  // 000000008B90: D100002C 00C25528
	v_cmp_u_f32_e64 s[48:49], v215, v215                       // 000000008B98: D0480030 0003AFD7
	v_add3_u32 v40, v215, v43, 1                               // 000000008BA0: D1FF0028 020657D7
	v_cndmask_b32_e64 v45, v40, v42, s[48:49]                  // 000000008BA8: D100002D 00C25528
	v_perm_b32 v203, v45, v44, s52                             // 000000008BB0: D1ED00CB 00D2592D
	v_cmp_u_f32_e64 s[48:49], v216, v216                       // 000000008BB8: D0480030 0003B1D8
	v_add3_u32 v40, v216, v43, 1                               // 000000008BC0: D1FF0028 020657D8
	v_cndmask_b32_e64 v44, v40, v42, s[48:49]                  // 000000008BC8: D100002C 00C25528
	v_cmp_u_f32_e64 s[48:49], v217, v217                       // 000000008BD0: D0480030 0003B3D9
	v_add3_u32 v40, v217, v43, 1                               // 000000008BD8: D1FF0028 020657D9
	v_cndmask_b32_e64 v45, v40, v42, s[48:49]                  // 000000008BE0: D100002D 00C25528
	v_perm_b32 v204, v45, v44, s52                             // 000000008BE8: D1ED00CC 00D2592D
	v_cmp_u_f32_e64 s[48:49], v218, v218                       // 000000008BF0: D0480030 0003B5DA
	v_add3_u32 v40, v218, v43, 1                               // 000000008BF8: D1FF0028 020657DA
	v_cndmask_b32_e64 v44, v40, v42, s[48:49]                  // 000000008C00: D100002C 00C25528
	v_cmp_u_f32_e64 s[48:49], v219, v219                       // 000000008C08: D0480030 0003B7DB
	v_add3_u32 v40, v219, v43, 1                               // 000000008C10: D1FF0028 020657DB
	v_cndmask_b32_e64 v45, v40, v42, s[48:49]                  // 000000008C18: D100002D 00C25528
	v_perm_b32 v205, v45, v44, s52                             // 000000008C20: D1ED00CD 00D2592D
	v_cmp_u_f32_e64 s[48:49], v220, v220                       // 000000008C28: D0480030 0003B9DC
	v_add3_u32 v40, v220, v43, 1                               // 000000008C30: D1FF0028 020657DC
	v_cndmask_b32_e64 v44, v40, v42, s[48:49]                  // 000000008C38: D100002C 00C25528
	v_cmp_u_f32_e64 s[48:49], v221, v221                       // 000000008C40: D0480030 0003BBDD
	v_add3_u32 v40, v221, v43, 1                               // 000000008C48: D1FF0028 020657DD
	v_cndmask_b32_e64 v45, v40, v42, s[48:49]                  // 000000008C50: D100002D 00C25528
	v_perm_b32 v206, v45, v44, s52                             // 000000008C58: D1ED00CE 00D2592D
	v_cmp_u_f32_e64 s[48:49], v222, v222                       // 000000008C60: D0480030 0003BDDE
	v_add3_u32 v40, v222, v43, 1                               // 000000008C68: D1FF0028 020657DE
	v_cndmask_b32_e64 v44, v40, v42, s[48:49]                  // 000000008C70: D100002C 00C25528
	v_cmp_u_f32_e64 s[48:49], v223, v223                       // 000000008C78: D0480030 0003BFDF
	v_add3_u32 v40, v223, v43, 1                               // 000000008C80: D1FF0028 020657DF
	v_cndmask_b32_e64 v45, v40, v42, s[48:49]                  // 000000008C88: D100002D 00C25528
	v_perm_b32 v207, v45, v44, s52                             // 000000008C90: D1ED00CF 00D2592D
	ds_write_b64 v3, v[192:193] offset:26880                   // 000000008C98: D89A6900 0000C003
	ds_write_b64 v3, v[194:195] offset:35584                   // 000000008CA0: D89A8B00 0000C203
	ds_write_b64 v3, v[196:197] offset:29056                   // 000000008CA8: D89A7180 0000C403
	ds_write_b64 v3, v[198:199] offset:37760                   // 000000008CB0: D89A9380 0000C603
	ds_write_b64 v3, v[200:201] offset:31232                   // 000000008CB8: D89A7A00 0000C803
	ds_write_b64 v3, v[202:203] offset:39936                   // 000000008CC0: D89A9C00 0000CA03
	ds_write_b64 v3, v[204:205] offset:33408                   // 000000008CC8: D89A8280 0000CC03
	ds_write_b64 v3, v[206:207] offset:42112                   // 000000008CD0: D89AA480 0000CE03
	s_waitcnt lgkmcnt(0)                                       // 000000008CD8: BF8CC07F
	s_barrier                                                  // 000000008CDC: BF8A0000
	ds_read_b32 v64, v4 offset:26880                           // 000000008CE0: D86C6900 40000004
	ds_read_b32 v65, v4 offset:31232                           // 000000008CE8: D86C7A00 41000004
	ds_read_b32 v66, v4 offset:26912                           // 000000008CF0: D86C6920 42000004
	ds_read_b32 v67, v4 offset:31264                           // 000000008CF8: D86C7A20 43000004
	ds_read_b32 v68, v4 offset:26944                           // 000000008D00: D86C6940 44000004
	ds_read_b32 v69, v4 offset:31296                           // 000000008D08: D86C7A40 45000004
	ds_read_b32 v70, v4 offset:26976                           // 000000008D10: D86C6960 46000004
	ds_read_b32 v71, v4 offset:31328                           // 000000008D18: D86C7A60 47000004
	ds_read_b32 v72, v4 offset:35584                           // 000000008D20: D86C8B00 48000004
	ds_read_b32 v73, v4 offset:39936                           // 000000008D28: D86C9C00 49000004
	ds_read_b32 v74, v4 offset:35616                           // 000000008D30: D86C8B20 4A000004
	ds_read_b32 v75, v4 offset:39968                           // 000000008D38: D86C9C20 4B000004
	ds_read_b32 v76, v4 offset:35648                           // 000000008D40: D86C8B40 4C000004
	ds_read_b32 v77, v4 offset:40000                           // 000000008D48: D86C9C40 4D000004
	ds_read_b32 v78, v4 offset:35680                           // 000000008D50: D86C8B60 4E000004
	ds_read_b32 v79, v4 offset:40032                           // 000000008D58: D86C9C60 4F000004
	s_waitcnt lgkmcnt(0)                                       // 000000008D60: BF8CC07F
	s_mov_b64 exec, s[20:21]                                   // 000000008D64: BEFE0114
	global_atomic_pk_add_bf16 v80, v64, s[8:9]                 // 000000008D68: DD488000 00084050
	s_mov_b64 exec, s[36:37]                                   // 000000008D70: BEFE0124
	s_mov_b64 exec, s[20:21]                                   // 000000008D74: BEFE0114
	global_atomic_pk_add_bf16 v80, v65, s[8:9] offset:256      // 000000008D78: DD488100 00084150
	s_mov_b64 exec, s[36:37]                                   // 000000008D80: BEFE0124
	s_mov_b64 exec, s[22:23]                                   // 000000008D84: BEFE0116
	global_atomic_pk_add_bf16 v82, v66, s[8:9]                 // 000000008D88: DD488000 00084252
	s_mov_b64 exec, s[36:37]                                   // 000000008D90: BEFE0124
	s_mov_b64 exec, s[22:23]                                   // 000000008D94: BEFE0116
	global_atomic_pk_add_bf16 v82, v67, s[8:9] offset:256      // 000000008D98: DD488100 00084352
	s_mov_b64 exec, s[36:37]                                   // 000000008DA0: BEFE0124
	s_mov_b64 exec, s[24:25]                                   // 000000008DA4: BEFE0118
	global_atomic_pk_add_bf16 v84, v68, s[8:9]                 // 000000008DA8: DD488000 00084454
	s_mov_b64 exec, s[36:37]                                   // 000000008DB0: BEFE0124
	s_mov_b64 exec, s[24:25]                                   // 000000008DB4: BEFE0118
	global_atomic_pk_add_bf16 v84, v69, s[8:9] offset:256      // 000000008DB8: DD488100 00084554
	s_mov_b64 exec, s[36:37]                                   // 000000008DC0: BEFE0124
	s_mov_b64 exec, s[26:27]                                   // 000000008DC4: BEFE011A
	global_atomic_pk_add_bf16 v86, v70, s[8:9]                 // 000000008DC8: DD488000 00084656
	s_mov_b64 exec, s[36:37]                                   // 000000008DD0: BEFE0124
	s_mov_b64 exec, s[26:27]                                   // 000000008DD4: BEFE011A
	global_atomic_pk_add_bf16 v86, v71, s[8:9] offset:256      // 000000008DD8: DD488100 00084756
	s_mov_b64 exec, s[36:37]                                   // 000000008DE0: BEFE0124
	s_mov_b64 exec, s[28:29]                                   // 000000008DE4: BEFE011C
	global_atomic_pk_add_bf16 v88, v72, s[8:9]                 // 000000008DE8: DD488000 00084858
	s_mov_b64 exec, s[36:37]                                   // 000000008DF0: BEFE0124
	s_mov_b64 exec, s[28:29]                                   // 000000008DF4: BEFE011C
	global_atomic_pk_add_bf16 v88, v73, s[8:9] offset:256      // 000000008DF8: DD488100 00084958
	s_mov_b64 exec, s[36:37]                                   // 000000008E00: BEFE0124
	s_mov_b64 exec, s[30:31]                                   // 000000008E04: BEFE011E
	global_atomic_pk_add_bf16 v90, v74, s[8:9]                 // 000000008E08: DD488000 00084A5A
	s_mov_b64 exec, s[36:37]                                   // 000000008E10: BEFE0124
	s_mov_b64 exec, s[30:31]                                   // 000000008E14: BEFE011E
	global_atomic_pk_add_bf16 v90, v75, s[8:9] offset:256      // 000000008E18: DD488100 00084B5A
	s_mov_b64 exec, s[36:37]                                   // 000000008E20: BEFE0124
	s_mov_b64 exec, s[32:33]                                   // 000000008E24: BEFE0120
	global_atomic_pk_add_bf16 v92, v76, s[8:9]                 // 000000008E28: DD488000 00084C5C
	s_mov_b64 exec, s[36:37]                                   // 000000008E30: BEFE0124
	s_mov_b64 exec, s[32:33]                                   // 000000008E34: BEFE0120
	global_atomic_pk_add_bf16 v92, v77, s[8:9] offset:256      // 000000008E38: DD488100 00084D5C
	s_mov_b64 exec, s[36:37]                                   // 000000008E40: BEFE0124
	s_mov_b64 exec, s[34:35]                                   // 000000008E44: BEFE0122
	global_atomic_pk_add_bf16 v94, v78, s[8:9]                 // 000000008E48: DD488000 00084E5E
	s_mov_b64 exec, s[36:37]                                   // 000000008E50: BEFE0124
	s_mov_b64 exec, s[34:35]                                   // 000000008E54: BEFE0122
	global_atomic_pk_add_bf16 v94, v79, s[8:9] offset:256      // 000000008E58: DD488100 00084F5E
	s_mov_b64 exec, s[36:37]                                   // 000000008E60: BEFE0124
	s_add_u32 s8, s59, s8                                      // 000000008E64: 8008083B
	s_addc_u32 s9, 0, s9                                       // 000000008E68: 82090980
	s_addk_i32 s80, 0x100                                      // 000000008E6C: B7500100
	s_cmp_lt_i32 s80, s81                                      // 000000008E70: BF045150
	s_cbranch_scc0 label_0D67                                  // 000000008E74: BF84F549
	s_branch label_12C0                                        // 000000008E78: BF82FAA1

0000000000008e7c <label_181F>:
	s_waitcnt vmcnt(0) expcnt(0) lgkmcnt(0)                    // 000000008E7C: BF8C0000
	s_add_u32 s100, s100, 1                                    // 000000008E80: 80648164
	s_cmp_eq_u32 s96, 0                                        // 000000008E84: BF068060
	s_cbranch_scc0 label_0039                                  // 000000008E88: BF84E816

0000000000008e8c <label_1823>:
	s_waitcnt vmcnt(0) expcnt(0) lgkmcnt(0)                    // 000000008E8C: BF8C0000
	s_endpgm                                                   // 000000008E90: BF810000
